;; amdgpu-corpus repo=ROCm/rocFFT kind=compiled arch=gfx906 opt=O3
	.text
	.amdgcn_target "amdgcn-amd-amdhsa--gfx906"
	.amdhsa_code_object_version 6
	.protected	fft_rtc_back_len165_factors_11_5_3_wgs_55_tpt_11_dp_ip_CI_sbrr_dirReg ; -- Begin function fft_rtc_back_len165_factors_11_5_3_wgs_55_tpt_11_dp_ip_CI_sbrr_dirReg
	.globl	fft_rtc_back_len165_factors_11_5_3_wgs_55_tpt_11_dp_ip_CI_sbrr_dirReg
	.p2align	8
	.type	fft_rtc_back_len165_factors_11_5_3_wgs_55_tpt_11_dp_ip_CI_sbrr_dirReg,@function
fft_rtc_back_len165_factors_11_5_3_wgs_55_tpt_11_dp_ip_CI_sbrr_dirReg: ; @fft_rtc_back_len165_factors_11_5_3_wgs_55_tpt_11_dp_ip_CI_sbrr_dirReg
; %bb.0:
	s_load_dwordx2 s[14:15], s[4:5], 0x18
	s_load_dwordx4 s[8:11], s[4:5], 0x0
	s_load_dwordx2 s[12:13], s[4:5], 0x50
	v_mul_u32_u24_e32 v1, 0x1746, v0
	v_lshrrev_b32_e32 v1, 16, v1
	s_waitcnt lgkmcnt(0)
	s_load_dwordx2 s[2:3], s[14:15], 0x0
	v_mad_u64_u32 v[1:2], s[0:1], s6, 5, v[1:2]
	v_mov_b32_e32 v5, 0
	v_cmp_lt_u64_e64 s[0:1], s[10:11], 2
	v_mov_b32_e32 v2, v5
	v_mov_b32_e32 v3, 0
	;; [unrolled: 1-line block ×3, first 2 shown]
	s_and_b64 vcc, exec, s[0:1]
	v_mov_b32_e32 v4, 0
	v_mov_b32_e32 v9, v1
	s_cbranch_vccnz .LBB0_8
; %bb.1:
	s_load_dwordx2 s[0:1], s[4:5], 0x10
	s_add_u32 s6, s14, 8
	s_addc_u32 s7, s15, 0
	v_mov_b32_e32 v3, 0
	v_mov_b32_e32 v8, v2
	s_waitcnt lgkmcnt(0)
	s_add_u32 s18, s0, 8
	s_mov_b64 s[16:17], 1
	v_mov_b32_e32 v4, 0
	s_addc_u32 s19, s1, 0
	v_mov_b32_e32 v7, v1
.LBB0_2:                                ; =>This Inner Loop Header: Depth=1
	s_load_dwordx2 s[20:21], s[18:19], 0x0
                                        ; implicit-def: $vgpr9_vgpr10
	s_waitcnt lgkmcnt(0)
	v_or_b32_e32 v6, s21, v8
	v_cmp_ne_u64_e32 vcc, 0, v[5:6]
	s_and_saveexec_b64 s[0:1], vcc
	s_xor_b64 s[22:23], exec, s[0:1]
	s_cbranch_execz .LBB0_4
; %bb.3:                                ;   in Loop: Header=BB0_2 Depth=1
	v_cvt_f32_u32_e32 v2, s20
	v_cvt_f32_u32_e32 v6, s21
	s_sub_u32 s0, 0, s20
	s_subb_u32 s1, 0, s21
	v_mac_f32_e32 v2, 0x4f800000, v6
	v_rcp_f32_e32 v2, v2
	v_mul_f32_e32 v2, 0x5f7ffffc, v2
	v_mul_f32_e32 v6, 0x2f800000, v2
	v_trunc_f32_e32 v6, v6
	v_mac_f32_e32 v2, 0xcf800000, v6
	v_cvt_u32_f32_e32 v6, v6
	v_cvt_u32_f32_e32 v2, v2
	v_mul_lo_u32 v9, s0, v6
	v_mul_hi_u32 v10, s0, v2
	v_mul_lo_u32 v12, s1, v2
	v_mul_lo_u32 v11, s0, v2
	v_add_u32_e32 v9, v10, v9
	v_add_u32_e32 v9, v9, v12
	v_mul_hi_u32 v10, v2, v11
	v_mul_lo_u32 v12, v2, v9
	v_mul_hi_u32 v14, v2, v9
	v_mul_hi_u32 v13, v6, v11
	v_mul_lo_u32 v11, v6, v11
	v_mul_hi_u32 v15, v6, v9
	v_add_co_u32_e32 v10, vcc, v10, v12
	v_addc_co_u32_e32 v12, vcc, 0, v14, vcc
	v_mul_lo_u32 v9, v6, v9
	v_add_co_u32_e32 v10, vcc, v10, v11
	v_addc_co_u32_e32 v10, vcc, v12, v13, vcc
	v_addc_co_u32_e32 v11, vcc, 0, v15, vcc
	v_add_co_u32_e32 v9, vcc, v10, v9
	v_addc_co_u32_e32 v10, vcc, 0, v11, vcc
	v_add_co_u32_e32 v2, vcc, v2, v9
	v_addc_co_u32_e32 v6, vcc, v6, v10, vcc
	v_mul_lo_u32 v9, s0, v6
	v_mul_hi_u32 v10, s0, v2
	v_mul_lo_u32 v11, s1, v2
	v_mul_lo_u32 v12, s0, v2
	v_add_u32_e32 v9, v10, v9
	v_add_u32_e32 v9, v9, v11
	v_mul_lo_u32 v13, v2, v9
	v_mul_hi_u32 v14, v2, v12
	v_mul_hi_u32 v15, v2, v9
	;; [unrolled: 1-line block ×3, first 2 shown]
	v_mul_lo_u32 v12, v6, v12
	v_mul_hi_u32 v10, v6, v9
	v_add_co_u32_e32 v13, vcc, v14, v13
	v_addc_co_u32_e32 v14, vcc, 0, v15, vcc
	v_mul_lo_u32 v9, v6, v9
	v_add_co_u32_e32 v12, vcc, v13, v12
	v_addc_co_u32_e32 v11, vcc, v14, v11, vcc
	v_addc_co_u32_e32 v10, vcc, 0, v10, vcc
	v_add_co_u32_e32 v9, vcc, v11, v9
	v_addc_co_u32_e32 v10, vcc, 0, v10, vcc
	v_add_co_u32_e32 v2, vcc, v2, v9
	v_addc_co_u32_e32 v6, vcc, v6, v10, vcc
	v_mad_u64_u32 v[9:10], s[0:1], v7, v6, 0
	v_mul_hi_u32 v11, v7, v2
	v_add_co_u32_e32 v13, vcc, v11, v9
	v_addc_co_u32_e32 v14, vcc, 0, v10, vcc
	v_mad_u64_u32 v[9:10], s[0:1], v8, v2, 0
	v_mad_u64_u32 v[11:12], s[0:1], v8, v6, 0
	v_add_co_u32_e32 v2, vcc, v13, v9
	v_addc_co_u32_e32 v2, vcc, v14, v10, vcc
	v_addc_co_u32_e32 v6, vcc, 0, v12, vcc
	v_add_co_u32_e32 v2, vcc, v2, v11
	v_addc_co_u32_e32 v6, vcc, 0, v6, vcc
	v_mul_lo_u32 v11, s21, v2
	v_mul_lo_u32 v12, s20, v6
	v_mad_u64_u32 v[9:10], s[0:1], s20, v2, 0
	v_add3_u32 v10, v10, v12, v11
	v_sub_u32_e32 v11, v8, v10
	v_mov_b32_e32 v12, s21
	v_sub_co_u32_e32 v9, vcc, v7, v9
	v_subb_co_u32_e64 v11, s[0:1], v11, v12, vcc
	v_subrev_co_u32_e64 v12, s[0:1], s20, v9
	v_subbrev_co_u32_e64 v11, s[0:1], 0, v11, s[0:1]
	v_cmp_le_u32_e64 s[0:1], s21, v11
	v_cndmask_b32_e64 v13, 0, -1, s[0:1]
	v_cmp_le_u32_e64 s[0:1], s20, v12
	v_cndmask_b32_e64 v12, 0, -1, s[0:1]
	v_cmp_eq_u32_e64 s[0:1], s21, v11
	v_cndmask_b32_e64 v11, v13, v12, s[0:1]
	v_add_co_u32_e64 v12, s[0:1], 2, v2
	v_addc_co_u32_e64 v13, s[0:1], 0, v6, s[0:1]
	v_add_co_u32_e64 v14, s[0:1], 1, v2
	v_addc_co_u32_e64 v15, s[0:1], 0, v6, s[0:1]
	v_subb_co_u32_e32 v10, vcc, v8, v10, vcc
	v_cmp_ne_u32_e64 s[0:1], 0, v11
	v_cmp_le_u32_e32 vcc, s21, v10
	v_cndmask_b32_e64 v11, v15, v13, s[0:1]
	v_cndmask_b32_e64 v13, 0, -1, vcc
	v_cmp_le_u32_e32 vcc, s20, v9
	v_cndmask_b32_e64 v9, 0, -1, vcc
	v_cmp_eq_u32_e32 vcc, s21, v10
	v_cndmask_b32_e32 v9, v13, v9, vcc
	v_cmp_ne_u32_e32 vcc, 0, v9
	v_cndmask_b32_e32 v10, v6, v11, vcc
	v_cndmask_b32_e64 v6, v14, v12, s[0:1]
	v_cndmask_b32_e32 v9, v2, v6, vcc
.LBB0_4:                                ;   in Loop: Header=BB0_2 Depth=1
	s_andn2_saveexec_b64 s[0:1], s[22:23]
	s_cbranch_execz .LBB0_6
; %bb.5:                                ;   in Loop: Header=BB0_2 Depth=1
	v_cvt_f32_u32_e32 v2, s20
	s_sub_i32 s22, 0, s20
	v_rcp_iflag_f32_e32 v2, v2
	v_mul_f32_e32 v2, 0x4f7ffffe, v2
	v_cvt_u32_f32_e32 v2, v2
	v_mul_lo_u32 v6, s22, v2
	v_mul_hi_u32 v6, v2, v6
	v_add_u32_e32 v2, v2, v6
	v_mul_hi_u32 v2, v7, v2
	v_mul_lo_u32 v6, v2, s20
	v_add_u32_e32 v9, 1, v2
	v_sub_u32_e32 v6, v7, v6
	v_subrev_u32_e32 v10, s20, v6
	v_cmp_le_u32_e32 vcc, s20, v6
	v_cndmask_b32_e32 v6, v6, v10, vcc
	v_cndmask_b32_e32 v2, v2, v9, vcc
	v_add_u32_e32 v9, 1, v2
	v_cmp_le_u32_e32 vcc, s20, v6
	v_cndmask_b32_e32 v9, v2, v9, vcc
	v_mov_b32_e32 v10, v5
.LBB0_6:                                ;   in Loop: Header=BB0_2 Depth=1
	s_or_b64 exec, exec, s[0:1]
	v_mul_lo_u32 v2, v10, s20
	v_mul_lo_u32 v6, v9, s21
	v_mad_u64_u32 v[11:12], s[0:1], v9, s20, 0
	s_load_dwordx2 s[0:1], s[6:7], 0x0
	s_add_u32 s16, s16, 1
	v_add3_u32 v2, v12, v6, v2
	v_sub_co_u32_e32 v6, vcc, v7, v11
	v_subb_co_u32_e32 v2, vcc, v8, v2, vcc
	s_waitcnt lgkmcnt(0)
	v_mul_lo_u32 v2, s0, v2
	v_mul_lo_u32 v7, s1, v6
	v_mad_u64_u32 v[3:4], s[0:1], s0, v6, v[3:4]
	s_addc_u32 s17, s17, 0
	s_add_u32 s6, s6, 8
	v_add3_u32 v4, v7, v4, v2
	v_mov_b32_e32 v6, s10
	v_mov_b32_e32 v7, s11
	s_addc_u32 s7, s7, 0
	v_cmp_ge_u64_e32 vcc, s[16:17], v[6:7]
	s_add_u32 s18, s18, 8
	s_addc_u32 s19, s19, 0
	s_cbranch_vccnz .LBB0_8
; %bb.7:                                ;   in Loop: Header=BB0_2 Depth=1
	v_mov_b32_e32 v7, v9
	v_mov_b32_e32 v8, v10
	s_branch .LBB0_2
.LBB0_8:
	s_lshl_b64 s[0:1], s[10:11], 3
	s_add_u32 s0, s14, s0
	s_addc_u32 s1, s15, s1
	s_load_dwordx2 s[0:1], s[0:1], 0x0
	s_mov_b32 s6, 0xcccccccd
	v_mul_hi_u32 v5, v1, s6
                                        ; implicit-def: $vgpr107
	s_waitcnt lgkmcnt(0)
	v_mul_lo_u32 v6, s0, v10
	v_mul_lo_u32 v7, s1, v9
	v_mad_u64_u32 v[2:3], s[0:1], s0, v9, v[3:4]
	s_load_dwordx2 s[0:1], s[4:5], 0x20
	s_mov_b32 s4, 0x1745d175
	v_lshrrev_b32_e32 v4, 2, v5
	v_mul_hi_u32 v5, v0, s4
	v_lshl_add_u32 v4, v4, 2, v4
	v_sub_u32_e32 v1, v1, v4
	s_waitcnt lgkmcnt(0)
	v_cmp_gt_u64_e32 vcc, s[0:1], v[9:10]
	v_mul_u32_u24_e32 v4, 11, v5
	v_cmp_le_u64_e64 s[0:1], s[0:1], v[9:10]
	v_sub_u32_e32 v98, v0, v4
	v_add3_u32 v3, v7, v3, v6
	v_add_u32_e32 v102, 11, v98
	s_and_saveexec_b64 s[4:5], s[0:1]
	s_xor_b64 s[0:1], exec, s[4:5]
; %bb.9:
	v_add_u32_e32 v107, 11, v98
; %bb.10:
	s_or_saveexec_b64 s[4:5], s[0:1]
	v_mul_u32_u24_e32 v0, 0xa5, v1
	v_lshlrev_b64 v[56:57], 4, v[2:3]
	v_lshlrev_b32_e32 v106, 4, v0
	v_lshlrev_b32_e32 v0, 4, v98
	v_add_u32_e32 v103, 22, v98
	v_add_u32_e32 v101, 33, v98
	;; [unrolled: 1-line block ×4, first 2 shown]
	s_xor_b64 exec, exec, s[4:5]
	s_cbranch_execz .LBB0_12
; %bb.11:
	v_mad_u64_u32 v[1:2], s[0:1], s2, v98, 0
	v_mov_b32_e32 v5, s13
	v_add_u32_e32 v34, 0x4d, v98
	v_mad_u64_u32 v[2:3], s[0:1], s3, v98, v[2:3]
	v_mad_u64_u32 v[3:4], s[0:1], s2, v102, 0
	v_add_co_u32_e64 v66, s[0:1], s12, v56
	v_addc_co_u32_e64 v67, s[0:1], v5, v57, s[0:1]
	v_lshlrev_b64 v[1:2], 4, v[1:2]
	v_mad_u64_u32 v[4:5], s[0:1], s3, v102, v[4:5]
	v_add_co_u32_e64 v9, s[0:1], v66, v1
	v_addc_co_u32_e64 v10, s[0:1], v67, v2, s[0:1]
	v_mad_u64_u32 v[11:12], s[0:1], s2, v103, 0
	v_lshlrev_b64 v[1:2], 4, v[3:4]
	v_add_u32_e32 v43, 0x63, v98
	v_add_co_u32_e64 v13, s[0:1], v66, v1
	v_addc_co_u32_e64 v14, s[0:1], v67, v2, s[0:1]
	v_mad_u64_u32 v[15:16], s[0:1], s2, v101, 0
	v_mov_b32_e32 v1, v12
	v_mad_u64_u32 v[17:18], s[0:1], s3, v103, v[1:2]
	v_mov_b32_e32 v1, v16
	;; [unrolled: 2-line block ×3, first 2 shown]
	global_load_dwordx4 v[1:4], v[9:10], off
	global_load_dwordx4 v[5:8], v[13:14], off
	v_lshlrev_b64 v[9:10], 4, v[11:12]
	v_mov_b32_e32 v16, v18
	v_add_co_u32_e64 v17, s[0:1], v66, v9
	v_addc_co_u32_e64 v18, s[0:1], v67, v10, s[0:1]
	v_mad_u64_u32 v[19:20], s[0:1], s2, v100, 0
	v_lshlrev_b64 v[11:12], 4, v[15:16]
	v_add_u32_e32 v50, 0x79, v98
	v_add_co_u32_e64 v21, s[0:1], v66, v11
	v_addc_co_u32_e64 v22, s[0:1], v67, v12, s[0:1]
	v_mad_u64_u32 v[23:24], s[0:1], s2, v99, 0
	v_mov_b32_e32 v9, v20
	v_mad_u64_u32 v[25:26], s[0:1], s3, v100, v[9:10]
	v_mov_b32_e32 v9, v24
	;; [unrolled: 2-line block ×3, first 2 shown]
	global_load_dwordx4 v[9:12], v[17:18], off
	global_load_dwordx4 v[13:16], v[21:22], off
	v_lshlrev_b64 v[17:18], 4, v[19:20]
	v_mov_b32_e32 v24, v26
	v_add_co_u32_e64 v25, s[0:1], v66, v17
	v_addc_co_u32_e64 v26, s[0:1], v67, v18, s[0:1]
	v_add_u32_e32 v18, 0x42, v98
	v_mad_u64_u32 v[27:28], s[0:1], s2, v18, 0
	v_lshlrev_b64 v[19:20], 4, v[23:24]
	v_add_u32_e32 v61, 0x8f, v98
	v_add_co_u32_e64 v29, s[0:1], v66, v19
	v_mov_b32_e32 v17, v28
	v_addc_co_u32_e64 v30, s[0:1], v67, v20, s[0:1]
	v_mad_u64_u32 v[31:32], s[0:1], s3, v18, v[17:18]
	v_mad_u64_u32 v[32:33], s[0:1], s2, v34, 0
	v_mov_b32_e32 v28, v31
	global_load_dwordx4 v[17:20], v[25:26], off
	global_load_dwordx4 v[21:24], v[29:30], off
	v_lshlrev_b64 v[25:26], 4, v[27:28]
	v_mov_b32_e32 v27, v33
	v_mad_u64_u32 v[27:28], s[0:1], s3, v34, v[27:28]
	v_add_co_u32_e64 v34, s[0:1], v66, v25
	v_mov_b32_e32 v33, v27
	v_add_u32_e32 v27, 0x58, v98
	v_addc_co_u32_e64 v35, s[0:1], v67, v26, s[0:1]
	v_mad_u64_u32 v[36:37], s[0:1], s2, v27, 0
	v_lshlrev_b64 v[25:26], 4, v[32:33]
	v_mov_b32_e32 v107, v102
	v_add_co_u32_e64 v38, s[0:1], v66, v25
	v_mov_b32_e32 v25, v37
	v_addc_co_u32_e64 v39, s[0:1], v67, v26, s[0:1]
	v_mad_u64_u32 v[40:41], s[0:1], s3, v27, v[25:26]
	v_mad_u64_u32 v[41:42], s[0:1], s2, v43, 0
	global_load_dwordx4 v[25:28], v[34:35], off
	global_load_dwordx4 v[29:32], v[38:39], off
	v_mov_b32_e32 v37, v40
	v_mov_b32_e32 v35, v42
	v_lshlrev_b64 v[33:34], 4, v[36:37]
	v_mad_u64_u32 v[35:36], s[0:1], s3, v43, v[35:36]
	v_add_co_u32_e64 v43, s[0:1], v66, v33
	v_mov_b32_e32 v42, v35
	v_add_u32_e32 v35, 0x6e, v98
	v_addc_co_u32_e64 v44, s[0:1], v67, v34, s[0:1]
	v_lshlrev_b64 v[33:34], 4, v[41:42]
	v_mad_u64_u32 v[41:42], s[0:1], s2, v35, 0
	v_add_co_u32_e64 v45, s[0:1], v66, v33
	v_mov_b32_e32 v33, v42
	v_addc_co_u32_e64 v46, s[0:1], v67, v34, s[0:1]
	v_mad_u64_u32 v[47:48], s[0:1], s3, v35, v[33:34]
	v_mad_u64_u32 v[48:49], s[0:1], s2, v50, 0
	global_load_dwordx4 v[33:36], v[43:44], off
	global_load_dwordx4 v[37:40], v[45:46], off
	v_mov_b32_e32 v42, v47
	v_mov_b32_e32 v43, v49
	v_mad_u64_u32 v[43:44], s[0:1], s3, v50, v[43:44]
	v_lshlrev_b64 v[41:42], 4, v[41:42]
	v_add_co_u32_e64 v50, s[0:1], v66, v41
	v_mov_b32_e32 v49, v43
	v_add_u32_e32 v43, 0x84, v98
	v_addc_co_u32_e64 v51, s[0:1], v67, v42, s[0:1]
	v_mad_u64_u32 v[52:53], s[0:1], s2, v43, 0
	v_lshlrev_b64 v[41:42], 4, v[48:49]
	v_add_co_u32_e64 v54, s[0:1], v66, v41
	v_mov_b32_e32 v41, v53
	v_addc_co_u32_e64 v55, s[0:1], v67, v42, s[0:1]
	v_mad_u64_u32 v[58:59], s[0:1], s3, v43, v[41:42]
	v_mad_u64_u32 v[59:60], s[0:1], s2, v61, 0
	global_load_dwordx4 v[41:44], v[50:51], off
	global_load_dwordx4 v[45:48], v[54:55], off
	v_mov_b32_e32 v53, v58
	v_mov_b32_e32 v51, v60
	v_lshlrev_b64 v[49:50], 4, v[52:53]
	v_mad_u64_u32 v[51:52], s[0:1], s3, v61, v[51:52]
	v_add_u32_e32 v52, 0x9a, v98
	v_mad_u64_u32 v[53:54], s[0:1], s2, v52, 0
	v_add_co_u32_e64 v62, s[0:1], v66, v49
	v_mov_b32_e32 v60, v51
	v_addc_co_u32_e64 v63, s[0:1], v67, v50, s[0:1]
	v_lshlrev_b64 v[49:50], 4, v[59:60]
	v_mov_b32_e32 v51, v54
	v_mad_u64_u32 v[54:55], s[0:1], s3, v52, v[51:52]
	v_add_co_u32_e64 v64, s[0:1], v66, v49
	v_addc_co_u32_e64 v65, s[0:1], v67, v50, s[0:1]
	global_load_dwordx4 v[49:52], v[62:63], off
	global_load_dwordx4 v[58:61], v[64:65], off
	v_lshlrev_b64 v[53:54], 4, v[53:54]
	v_add_co_u32_e64 v53, s[0:1], v66, v53
	v_addc_co_u32_e64 v54, s[0:1], v67, v54, s[0:1]
	global_load_dwordx4 v[62:65], v[53:54], off
	v_add3_u32 v53, 0, v106, v0
	s_waitcnt vmcnt(14)
	ds_write_b128 v53, v[1:4]
	s_waitcnt vmcnt(13)
	ds_write_b128 v53, v[5:8] offset:176
	s_waitcnt vmcnt(12)
	ds_write_b128 v53, v[9:12] offset:352
	;; [unrolled: 2-line block ×14, first 2 shown]
.LBB0_12:
	s_or_b64 exec, exec, s[4:5]
	v_add_u32_e32 v58, 0, v106
	v_add_u32_e32 v104, v58, v0
	;; [unrolled: 1-line block ×4, first 2 shown]
	s_waitcnt lgkmcnt(0)
	; wave barrier
	s_waitcnt lgkmcnt(0)
	ds_read_b128 v[48:51], v105 offset:240
	ds_read_b128 v[44:47], v104
	ds_read_b128 v[0:3], v105 offset:176
	ds_read_b128 v[12:15], v105 offset:416
	;; [unrolled: 1-line block ×5, first 2 shown]
	s_waitcnt lgkmcnt(5)
	v_add_f64 v[4:5], v[44:45], v[48:49]
	v_add_f64 v[6:7], v[46:47], v[50:51]
	ds_read_b128 v[32:35], v105 offset:960
	ds_read_b128 v[24:27], v105 offset:1136
	ds_read_b128 v[28:31], v105 offset:1200
	s_mov_b32 s14, 0xf8bb580b
	s_mov_b32 s10, 0x8eee2c13
	;; [unrolled: 1-line block ×3, first 2 shown]
	s_waitcnt lgkmcnt(5)
	v_add_f64 v[16:17], v[4:5], v[52:53]
	v_add_f64 v[18:19], v[6:7], v[54:55]
	ds_read_b128 v[4:7], v105 offset:896
	s_mov_b32 s24, 0xbb3a28a1
	s_mov_b32 s26, 0xfd768dbf
	;; [unrolled: 1-line block ×5, first 2 shown]
	s_waitcnt lgkmcnt(4)
	v_add_f64 v[16:17], v[16:17], v[38:39]
	v_add_f64 v[18:19], v[18:19], v[40:41]
	s_mov_b32 s25, 0xbfe82f19
	s_mov_b32 s27, 0xbfd207e7
	;; [unrolled: 1-line block ×6, first 2 shown]
	s_waitcnt lgkmcnt(3)
	v_add_f64 v[20:21], v[16:17], v[32:33]
	v_add_f64 v[22:23], v[18:19], v[34:35]
	ds_read_b128 v[16:19], v105 offset:1376
	ds_read_b128 v[59:62], v105 offset:1440
	s_mov_b32 s20, 0x9bcd5057
	s_mov_b32 s7, 0x3feaeb8c
	s_mov_b32 s5, 0x3fda9628
	s_mov_b32 s17, 0xbfc2375f
	s_waitcnt lgkmcnt(0)
	v_add_f64 v[75:76], v[28:29], v[59:60]
	v_add_f64 v[36:37], v[20:21], v[28:29]
	;; [unrolled: 1-line block ×3, first 2 shown]
	ds_read_b128 v[63:66], v105 offset:2160
	ds_read_b128 v[20:23], v105 offset:1616
	;; [unrolled: 1-line block ×3, first 2 shown]
	v_add_f64 v[77:78], v[30:31], v[61:62]
	v_add_f64 v[79:80], v[28:29], -v[59:60]
	v_add_f64 v[81:82], v[30:31], -v[61:62]
	ds_read_b128 v[28:31], v105 offset:1856
	v_add_f64 v[36:37], v[36:37], v[59:60]
	v_add_f64 v[42:43], v[42:43], v[61:62]
	s_waitcnt lgkmcnt(1)
	v_add_f64 v[83:84], v[32:33], v[67:68]
	v_add_f64 v[85:86], v[34:35], v[69:70]
	v_add_f64 v[87:88], v[32:33], -v[67:68]
	v_add_f64 v[89:90], v[34:35], -v[69:70]
	ds_read_b128 v[59:62], v105 offset:1920
	ds_read_b128 v[32:35], v105 offset:2096
	v_add_f64 v[67:68], v[36:37], v[67:68]
	v_add_f64 v[69:70], v[42:43], v[69:70]
	ds_read_b128 v[71:74], v105 offset:2400
	s_waitcnt lgkmcnt(2)
	v_add_f64 v[91:92], v[38:39], v[59:60]
	v_add_f64 v[93:94], v[40:41], v[61:62]
	v_add_f64 v[95:96], v[38:39], -v[59:60]
	v_add_f64 v[110:111], v[40:41], -v[61:62]
	ds_read_b128 v[40:43], v105 offset:2336
	v_add_f64 v[59:60], v[67:68], v[59:60]
	v_add_f64 v[61:62], v[69:70], v[61:62]
	s_waitcnt lgkmcnt(1)
	v_add_f64 v[108:109], v[50:51], -v[73:74]
	v_add_f64 v[69:70], v[50:51], v[73:74]
	v_add_f64 v[112:113], v[52:53], v[63:64]
	;; [unrolled: 1-line block ×3, first 2 shown]
	v_add_f64 v[116:117], v[52:53], -v[63:64]
	v_add_f64 v[52:53], v[48:49], v[71:72]
	v_add_f64 v[50:51], v[59:60], v[63:64]
	v_add_f64 v[59:60], v[61:62], v[65:66]
	v_mul_f64 v[67:68], v[108:109], s[14:15]
	v_add_f64 v[118:119], v[54:55], -v[65:66]
	v_mul_f64 v[54:55], v[108:109], s[10:11]
	v_add_f64 v[61:62], v[48:49], -v[71:72]
	v_mul_f64 v[63:64], v[108:109], s[18:19]
	s_mov_b32 s23, 0xbfe4f49e
	v_add_f64 v[48:49], v[50:51], v[71:72]
	v_add_f64 v[50:51], v[59:60], v[73:74]
	v_mul_f64 v[59:60], v[108:109], s[24:25]
	v_mul_f64 v[71:72], v[108:109], s[26:27]
	s_mov_b32 s21, 0xbfeeb42a
	v_fma_f64 v[65:66], v[52:53], s[6:7], v[67:68]
	v_fma_f64 v[67:68], v[52:53], s[6:7], -v[67:68]
	v_fma_f64 v[120:121], v[52:53], s[4:5], v[54:55]
	v_fma_f64 v[54:55], v[52:53], s[4:5], -v[54:55]
	;; [unrolled: 2-line block ×4, first 2 shown]
	v_mul_f64 v[122:123], v[69:70], s[6:7]
	v_fma_f64 v[124:125], v[52:53], s[20:21], v[71:72]
	v_fma_f64 v[52:53], v[52:53], s[20:21], -v[71:72]
	v_mul_f64 v[71:72], v[69:70], s[4:5]
	s_mov_b32 s31, 0x3fe14ced
	s_mov_b32 s30, s14
	;; [unrolled: 1-line block ×4, first 2 shown]
	v_fma_f64 v[126:127], v[61:62], s[30:31], v[122:123]
	v_mul_f64 v[128:129], v[69:70], s[16:17]
	v_mul_f64 v[132:133], v[69:70], s[22:23]
	v_fma_f64 v[130:131], v[61:62], s[38:39], v[71:72]
	v_mul_f64 v[69:70], v[69:70], s[20:21]
	s_mov_b32 s35, 0x3fefac9e
	s_mov_b32 s34, s18
	;; [unrolled: 1-line block ×6, first 2 shown]
	v_fma_f64 v[122:123], v[61:62], s[14:15], v[122:123]
	v_fma_f64 v[71:72], v[61:62], s[10:11], v[71:72]
	;; [unrolled: 1-line block ×8, first 2 shown]
	v_add_f64 v[69:70], v[46:47], v[126:127]
	v_add_f64 v[126:127], v[46:47], v[130:131]
	;; [unrolled: 1-line block ×3, first 2 shown]
	v_mul_f64 v[54:55], v[118:119], s[10:11]
	v_add_f64 v[65:66], v[44:45], v[65:66]
	v_add_f64 v[140:141], v[44:45], v[63:64]
	v_mul_f64 v[63:64], v[114:115], s[4:5]
	v_mul_f64 v[144:145], v[110:111], s[18:19]
	v_add_f64 v[146:147], v[44:45], v[59:60]
	v_mul_f64 v[148:149], v[93:94], s[16:17]
	v_mul_f64 v[150:151], v[89:90], s[24:25]
	v_fma_f64 v[142:143], v[112:113], s[4:5], v[54:55]
	v_add_f64 v[67:68], v[44:45], v[67:68]
	v_add_f64 v[122:123], v[46:47], v[122:123]
	v_fma_f64 v[59:60], v[116:117], s[38:39], v[63:64]
	v_add_f64 v[120:121], v[44:45], v[120:121]
	v_add_f64 v[71:72], v[46:47], v[71:72]
	;; [unrolled: 1-line block ×5, first 2 shown]
	v_fma_f64 v[142:143], v[91:92], s[16:17], v[144:145]
	v_add_f64 v[128:129], v[46:47], v[128:129]
	v_add_f64 v[108:109], v[44:45], v[108:109]
	;; [unrolled: 1-line block ×8, first 2 shown]
	v_fma_f64 v[44:45], v[112:113], s[4:5], -v[54:55]
	v_add_f64 v[46:47], v[59:60], v[69:70]
	v_fma_f64 v[52:53], v[95:96], s[34:35], v[148:149]
	v_fma_f64 v[54:55], v[116:117], s[10:11], v[63:64]
	v_add_f64 v[59:60], v[142:143], v[65:66]
	v_fma_f64 v[61:62], v[83:84], s[22:23], v[150:151]
	v_mul_f64 v[63:64], v[85:86], s[22:23]
	v_mul_f64 v[65:66], v[81:82], s[26:27]
	v_add_f64 v[44:45], v[44:45], v[67:68]
	v_fma_f64 v[67:68], v[91:92], s[16:17], -v[144:145]
	v_add_f64 v[46:47], v[52:53], v[46:47]
	v_add_f64 v[52:53], v[54:55], v[122:123]
	v_fma_f64 v[54:55], v[95:96], s[18:19], v[148:149]
	v_add_f64 v[59:60], v[61:62], v[59:60]
	v_fma_f64 v[61:62], v[87:88], s[0:1], v[63:64]
	v_fma_f64 v[69:70], v[75:76], s[20:21], v[65:66]
	v_mul_f64 v[122:123], v[77:78], s[20:21]
	v_add_f64 v[67:68], v[67:68], v[44:45]
	v_fma_f64 v[142:143], v[83:84], s[22:23], -v[150:151]
	v_mul_f64 v[144:145], v[118:119], s[24:25]
	v_add_f64 v[52:53], v[54:55], v[52:53]
	v_fma_f64 v[54:55], v[87:88], s[24:25], v[63:64]
	v_add_f64 v[46:47], v[61:62], v[46:47]
	v_add_f64 v[44:45], v[69:70], v[59:60]
	v_fma_f64 v[59:60], v[79:80], s[36:37], v[122:123]
	v_mul_f64 v[61:62], v[114:115], s[22:23]
	v_add_f64 v[63:64], v[142:143], v[67:68]
	v_fma_f64 v[67:68], v[112:113], s[22:23], v[144:145]
	v_mul_f64 v[69:70], v[110:111], s[36:37]
	v_add_f64 v[54:55], v[54:55], v[52:53]
	v_fma_f64 v[52:53], v[75:76], s[20:21], -v[65:66]
	v_fma_f64 v[65:66], v[79:80], s[26:27], v[122:123]
	v_add_f64 v[46:47], v[59:60], v[46:47]
	v_fma_f64 v[59:60], v[116:117], s[0:1], v[61:62]
	v_mul_f64 v[122:123], v[93:94], s[20:21]
	v_add_f64 v[67:68], v[67:68], v[120:121]
	v_fma_f64 v[120:121], v[91:92], s[20:21], v[69:70]
	v_mul_f64 v[142:143], v[89:90], s[34:35]
	v_fma_f64 v[61:62], v[116:117], s[24:25], v[61:62]
	v_add_f64 v[54:55], v[65:66], v[54:55]
	v_add_f64 v[52:53], v[52:53], v[63:64]
	;; [unrolled: 1-line block ×3, first 2 shown]
	v_fma_f64 v[65:66], v[95:96], s[26:27], v[122:123]
	v_fma_f64 v[63:64], v[112:113], s[22:23], -v[144:145]
	v_add_f64 v[67:68], v[120:121], v[67:68]
	v_fma_f64 v[120:121], v[83:84], s[16:17], v[142:143]
	v_mul_f64 v[126:127], v[85:86], s[16:17]
	v_mul_f64 v[144:145], v[81:82], s[30:31]
	v_add_f64 v[61:62], v[61:62], v[71:72]
	v_fma_f64 v[69:70], v[91:92], s[20:21], -v[69:70]
	v_add_f64 v[59:60], v[65:66], v[59:60]
	v_fma_f64 v[65:66], v[95:96], s[36:37], v[122:123]
	v_add_f64 v[63:64], v[63:64], v[130:131]
	v_add_f64 v[67:68], v[120:121], v[67:68]
	v_fma_f64 v[71:72], v[87:88], s[18:19], v[126:127]
	v_fma_f64 v[120:121], v[75:76], s[6:7], v[144:145]
	v_mul_f64 v[122:123], v[77:78], s[6:7]
	v_mul_f64 v[130:131], v[118:119], s[36:37]
	;; [unrolled: 1-line block ×3, first 2 shown]
	v_add_f64 v[61:62], v[65:66], v[61:62]
	v_fma_f64 v[65:66], v[87:88], s[34:35], v[126:127]
	v_add_f64 v[63:64], v[69:70], v[63:64]
	v_fma_f64 v[69:70], v[83:84], s[16:17], -v[142:143]
	v_add_f64 v[71:72], v[71:72], v[59:60]
	v_add_f64 v[59:60], v[120:121], v[67:68]
	v_fma_f64 v[67:68], v[79:80], s[14:15], v[122:123]
	v_fma_f64 v[122:123], v[79:80], s[30:31], v[122:123]
	v_mul_f64 v[120:121], v[114:115], s[20:21]
	v_add_f64 v[65:66], v[65:66], v[61:62]
	v_mul_f64 v[126:127], v[110:111], s[38:39]
	v_add_f64 v[63:64], v[69:70], v[63:64]
	v_fma_f64 v[69:70], v[112:113], s[20:21], v[130:131]
	v_fma_f64 v[142:143], v[75:76], s[6:7], -v[144:145]
	v_add_f64 v[61:62], v[67:68], v[71:72]
	v_mul_f64 v[71:72], v[93:94], s[4:5]
	v_fma_f64 v[67:68], v[116:117], s[26:27], v[120:121]
	v_add_f64 v[65:66], v[122:123], v[65:66]
	v_fma_f64 v[122:123], v[112:113], s[20:21], -v[130:131]
	v_mul_f64 v[144:145], v[89:90], s[14:15]
	v_add_f64 v[69:70], v[69:70], v[73:74]
	v_fma_f64 v[73:74], v[91:92], s[4:5], v[126:127]
	v_fma_f64 v[120:121], v[116:117], s[36:37], v[120:121]
	v_fma_f64 v[126:127], v[91:92], s[4:5], -v[126:127]
	v_add_f64 v[63:64], v[142:143], v[63:64]
	v_add_f64 v[67:68], v[67:68], v[134:135]
	;; [unrolled: 1-line block ×3, first 2 shown]
	v_fma_f64 v[130:131], v[95:96], s[10:11], v[71:72]
	v_mul_f64 v[134:135], v[85:86], s[6:7]
	v_add_f64 v[69:70], v[73:74], v[69:70]
	v_fma_f64 v[73:74], v[83:84], s[6:7], v[144:145]
	v_mul_f64 v[142:143], v[81:82], s[24:25]
	v_add_f64 v[120:121], v[120:121], v[128:129]
	v_fma_f64 v[71:72], v[95:96], s[38:39], v[71:72]
	v_add_f64 v[122:123], v[126:127], v[122:123]
	v_fma_f64 v[126:127], v[83:84], s[6:7], -v[144:145]
	v_mul_f64 v[140:141], v[118:119], s[34:35]
	v_add_f64 v[67:68], v[130:131], v[67:68]
	v_add_f64 v[69:70], v[73:74], v[69:70]
	v_fma_f64 v[73:74], v[87:88], s[30:31], v[134:135]
	v_fma_f64 v[128:129], v[75:76], s[22:23], v[142:143]
	v_add_f64 v[71:72], v[71:72], v[120:121]
	v_fma_f64 v[120:121], v[87:88], s[14:15], v[134:135]
	v_add_f64 v[122:123], v[126:127], v[122:123]
	v_fma_f64 v[126:127], v[112:113], s[16:17], v[140:141]
	v_mul_f64 v[134:135], v[110:111], s[14:15]
	v_mul_f64 v[130:131], v[77:78], s[22:23]
	v_add_f64 v[73:74], v[73:74], v[67:68]
	v_add_f64 v[67:68], v[128:129], v[69:70]
	v_mul_f64 v[128:129], v[114:115], s[16:17]
	v_add_f64 v[120:121], v[120:121], v[71:72]
	v_fma_f64 v[71:72], v[75:76], s[22:23], -v[142:143]
	v_add_f64 v[108:109], v[126:127], v[108:109]
	v_fma_f64 v[126:127], v[91:92], s[6:7], v[134:135]
	v_fma_f64 v[69:70], v[79:80], s[0:1], v[130:131]
	;; [unrolled: 1-line block ×3, first 2 shown]
	v_mul_f64 v[144:145], v[93:94], s[6:7]
	v_fma_f64 v[142:143], v[116:117], s[18:19], v[128:129]
	v_fma_f64 v[128:129], v[116:117], s[34:35], v[128:129]
	v_mul_f64 v[118:119], v[118:119], s[30:31]
	v_add_f64 v[71:72], v[71:72], v[122:123]
	v_add_f64 v[108:109], v[126:127], v[108:109]
	v_fma_f64 v[126:127], v[83:84], s[20:21], v[148:149]
	v_add_f64 v[69:70], v[69:70], v[73:74]
	v_add_f64 v[73:74], v[130:131], v[120:121]
	;; [unrolled: 1-line block ×3, first 2 shown]
	v_fma_f64 v[136:137], v[95:96], s[30:31], v[144:145]
	v_mul_f64 v[120:121], v[85:86], s[20:21]
	v_add_f64 v[128:129], v[128:129], v[132:133]
	v_fma_f64 v[132:133], v[95:96], s[14:15], v[144:145]
	v_mul_f64 v[114:115], v[114:115], s[6:7]
	v_fma_f64 v[140:141], v[112:113], s[16:17], -v[140:141]
	v_add_f64 v[108:109], v[126:127], v[108:109]
	v_fma_f64 v[126:127], v[112:113], s[6:7], v[118:119]
	v_mul_f64 v[110:111], v[110:111], s[24:25]
	v_fma_f64 v[112:113], v[112:113], s[6:7], -v[118:119]
	v_add_f64 v[122:123], v[136:137], v[122:123]
	v_fma_f64 v[136:137], v[87:88], s[36:37], v[120:121]
	v_add_f64 v[128:129], v[132:133], v[128:129]
	v_fma_f64 v[120:121], v[87:88], s[26:27], v[120:121]
	v_fma_f64 v[132:133], v[116:117], s[14:15], v[114:115]
	v_mul_f64 v[93:94], v[93:94], s[22:23]
	v_fma_f64 v[114:115], v[116:117], s[30:31], v[114:115]
	v_fma_f64 v[134:135], v[91:92], s[6:7], -v[134:135]
	v_fma_f64 v[116:117], v[91:92], s[22:23], v[110:111]
	v_add_f64 v[112:113], v[112:113], v[152:153]
	v_fma_f64 v[91:92], v[91:92], s[22:23], -v[110:111]
	v_add_f64 v[130:131], v[140:141], v[146:147]
	v_add_f64 v[118:119], v[126:127], v[124:125]
	;; [unrolled: 1-line block ×4, first 2 shown]
	v_fma_f64 v[128:129], v[95:96], s[0:1], v[93:94]
	v_add_f64 v[110:111], v[114:115], v[154:155]
	v_fma_f64 v[93:94], v[95:96], s[24:25], v[93:94]
	v_mul_f64 v[89:90], v[89:90], s[38:39]
	v_mul_f64 v[85:86], v[85:86], s[4:5]
	;; [unrolled: 1-line block ×3, first 2 shown]
	v_add_f64 v[91:92], v[91:92], v[112:113]
	v_mul_f64 v[112:113], v[77:78], s[4:5]
	v_add_f64 v[130:131], v[134:135], v[130:131]
	v_fma_f64 v[134:135], v[83:84], s[20:21], -v[148:149]
	v_add_f64 v[95:96], v[116:117], v[118:119]
	v_add_f64 v[114:115], v[128:129], v[124:125]
	v_add_f64 v[93:94], v[93:94], v[110:111]
	v_fma_f64 v[110:111], v[83:84], s[4:5], v[89:90]
	v_fma_f64 v[83:84], v[83:84], s[4:5], -v[89:90]
	v_fma_f64 v[89:90], v[87:88], s[10:11], v[85:86]
	v_mul_f64 v[81:82], v[81:82], s[18:19]
	v_mul_f64 v[77:78], v[77:78], s[16:17]
	v_fma_f64 v[85:86], v[87:88], s[38:39], v[85:86]
	v_add_f64 v[122:123], v[136:137], v[122:123]
	v_fma_f64 v[116:117], v[75:76], s[4:5], v[126:127]
	v_fma_f64 v[87:88], v[79:80], s[10:11], v[112:113]
	v_add_f64 v[95:96], v[110:111], v[95:96]
	v_add_f64 v[89:90], v[89:90], v[114:115]
	v_fma_f64 v[110:111], v[75:76], s[16:17], v[81:82]
	v_fma_f64 v[114:115], v[79:80], s[34:35], v[77:78]
	v_fma_f64 v[118:119], v[75:76], s[4:5], -v[126:127]
	v_add_f64 v[91:92], v[83:84], v[91:92]
	v_add_f64 v[93:94], v[85:86], v[93:94]
	v_fma_f64 v[124:125], v[75:76], s[16:17], -v[81:82]
	v_fma_f64 v[126:127], v[79:80], s[18:19], v[77:78]
	v_add_f64 v[130:131], v[134:135], v[130:131]
	v_fma_f64 v[112:113], v[79:80], s[38:39], v[112:113]
	ds_read_b128 v[36:39], v105 offset:2576
	v_add_f64 v[75:76], v[116:117], v[108:109]
	v_add_f64 v[77:78], v[87:88], v[122:123]
	;; [unrolled: 1-line block ×6, first 2 shown]
	s_movk_i32 s0, 0xb0
	v_add_f64 v[79:80], v[118:119], v[130:131]
	v_add_f64 v[81:82], v[112:113], v[120:121]
	v_mad_u32_u24 v58, v98, s0, v58
	v_cmp_gt_u32_e64 s[0:1], 4, v98
	s_waitcnt lgkmcnt(0)
	; wave barrier
	s_waitcnt lgkmcnt(0)
	ds_write_b128 v58, v[48:51]
	ds_write_b128 v58, v[44:47] offset:16
	ds_write_b128 v58, v[59:62] offset:32
	ds_write_b128 v58, v[67:70] offset:48
	ds_write_b128 v58, v[75:78] offset:64
	ds_write_b128 v58, v[83:86] offset:80
	ds_write_b128 v58, v[87:90] offset:96
	ds_write_b128 v58, v[79:82] offset:112
	ds_write_b128 v58, v[71:74] offset:128
	ds_write_b128 v58, v[63:66] offset:144
	ds_write_b128 v58, v[52:55] offset:160
	s_and_saveexec_b64 s[28:29], s[0:1]
	s_cbranch_execz .LBB0_14
; %bb.13:
	v_add_f64 v[96:97], v[12:13], -v[36:37]
	v_add_f64 v[94:95], v[8:9], -v[40:41]
	v_add_f64 v[66:67], v[14:15], v[38:39]
	v_add_f64 v[88:89], v[14:15], -v[38:39]
	v_add_f64 v[92:93], v[4:5], -v[32:33]
	v_add_f64 v[68:69], v[10:11], v[42:43]
	v_add_f64 v[76:77], v[10:11], -v[42:43]
	v_add_f64 v[74:75], v[12:13], v[36:37]
	v_mul_f64 v[44:45], v[96:97], s[26:27]
	v_mul_f64 v[46:47], v[94:95], s[30:31]
	v_add_f64 v[90:91], v[24:25], -v[28:29]
	v_mul_f64 v[50:51], v[88:89], s[26:27]
	v_add_f64 v[62:63], v[6:7], v[34:35]
	v_add_f64 v[80:81], v[6:7], -v[34:35]
	v_add_f64 v[72:73], v[8:9], v[40:41]
	v_mul_f64 v[52:53], v[92:93], s[24:25]
	v_fma_f64 v[48:49], v[66:67], s[20:21], v[44:45]
	v_fma_f64 v[54:55], v[68:69], s[6:7], v[46:47]
	v_mul_f64 v[108:109], v[76:77], s[30:31]
	v_fma_f64 v[78:79], v[74:75], s[20:21], -v[50:51]
	v_fma_f64 v[44:45], v[66:67], s[20:21], -v[44:45]
	v_add_f64 v[86:87], v[16:17], -v[20:21]
	v_add_f64 v[60:61], v[26:27], v[30:31]
	v_add_f64 v[84:85], v[26:27], -v[30:31]
	v_add_f64 v[48:49], v[2:3], v[48:49]
	v_add_f64 v[70:71], v[4:5], v[32:33]
	v_mul_f64 v[110:111], v[90:91], s[38:39]
	v_mul_f64 v[112:113], v[80:81], s[24:25]
	v_fma_f64 v[114:115], v[62:63], s[22:23], v[52:53]
	v_add_f64 v[78:79], v[0:1], v[78:79]
	v_fma_f64 v[46:47], v[68:69], s[6:7], -v[46:47]
	v_add_f64 v[44:45], v[2:3], v[44:45]
	v_add_f64 v[48:49], v[54:55], v[48:49]
	v_fma_f64 v[54:55], v[72:73], s[6:7], -v[108:109]
	v_add_f64 v[58:59], v[18:19], v[22:23]
	v_add_f64 v[64:65], v[24:25], v[28:29]
	v_mul_f64 v[116:117], v[86:87], s[18:19]
	v_mul_f64 v[118:119], v[84:85], s[38:39]
	v_fma_f64 v[120:121], v[60:61], s[4:5], v[110:111]
	v_fma_f64 v[52:53], v[62:63], s[22:23], -v[52:53]
	v_add_f64 v[48:49], v[114:115], v[48:49]
	v_fma_f64 v[114:115], v[70:71], s[22:23], -v[112:113]
	v_add_f64 v[54:55], v[54:55], v[78:79]
	v_add_f64 v[44:45], v[46:47], v[44:45]
	v_fma_f64 v[124:125], v[58:59], s[16:17], v[116:117]
	v_fma_f64 v[110:111], v[60:61], s[4:5], -v[110:111]
	v_fma_f64 v[50:51], v[74:75], s[20:21], v[50:51]
	v_mul_f64 v[128:129], v[92:93], s[14:15]
	v_add_f64 v[46:47], v[120:121], v[48:49]
	v_fma_f64 v[48:49], v[64:65], s[4:5], -v[118:119]
	v_add_f64 v[54:55], v[114:115], v[54:55]
	v_mul_f64 v[114:115], v[96:97], s[24:25]
	v_add_f64 v[44:45], v[52:53], v[44:45]
	v_fma_f64 v[52:53], v[58:59], s[16:17], -v[116:117]
	v_mul_f64 v[116:117], v[88:89], s[24:25]
	v_add_f64 v[50:51], v[0:1], v[50:51]
	v_add_f64 v[46:47], v[124:125], v[46:47]
	v_add_f64 v[82:83], v[18:19], -v[22:23]
	v_add_f64 v[48:49], v[48:49], v[54:55]
	v_fma_f64 v[54:55], v[72:73], s[6:7], v[108:109]
	v_mul_f64 v[108:109], v[94:95], s[34:35]
	v_fma_f64 v[124:125], v[66:67], s[22:23], v[114:115]
	v_add_f64 v[110:111], v[110:111], v[44:45]
	v_fma_f64 v[44:45], v[70:71], s[22:23], v[112:113]
	v_mul_f64 v[112:113], v[76:77], s[34:35]
	v_fma_f64 v[126:127], v[74:75], s[22:23], -v[116:117]
	v_fma_f64 v[136:137], v[62:63], s[6:7], v[128:129]
	v_add_f64 v[50:51], v[54:55], v[50:51]
	v_fma_f64 v[130:131], v[68:69], s[16:17], v[108:109]
	v_add_f64 v[124:125], v[2:3], v[124:125]
	v_fma_f64 v[54:55], v[64:65], s[4:5], v[118:119]
	v_mul_f64 v[118:119], v[80:81], s[14:15]
	v_fma_f64 v[132:133], v[72:73], s[16:17], -v[112:113]
	v_add_f64 v[126:127], v[0:1], v[126:127]
	v_add_f64 v[78:79], v[16:17], v[20:21]
	;; [unrolled: 1-line block ×3, first 2 shown]
	v_fma_f64 v[50:51], v[66:67], s[22:23], -v[114:115]
	v_add_f64 v[124:125], v[130:131], v[124:125]
	v_mul_f64 v[130:131], v[84:85], s[26:27]
	v_fma_f64 v[114:115], v[70:71], s[6:7], -v[118:119]
	v_mul_f64 v[122:123], v[82:83], s[18:19]
	v_add_f64 v[126:127], v[132:133], v[126:127]
	v_mul_f64 v[134:135], v[90:91], s[26:27]
	v_fma_f64 v[108:109], v[68:69], s[16:17], -v[108:109]
	v_add_f64 v[50:51], v[2:3], v[50:51]
	v_add_f64 v[124:125], v[136:137], v[124:125]
	v_mul_f64 v[136:137], v[82:83], s[38:39]
	v_fma_f64 v[140:141], v[64:65], s[20:21], -v[130:131]
	v_fma_f64 v[120:121], v[78:79], s[16:17], -v[122:123]
	v_add_f64 v[114:115], v[114:115], v[126:127]
	v_mul_f64 v[132:133], v[86:87], s[38:39]
	v_fma_f64 v[138:139], v[60:61], s[20:21], v[134:135]
	v_fma_f64 v[122:123], v[78:79], s[16:17], v[122:123]
	v_add_f64 v[126:127], v[54:55], v[44:45]
	v_fma_f64 v[128:129], v[62:63], s[6:7], -v[128:129]
	v_add_f64 v[50:51], v[108:109], v[50:51]
	v_fma_f64 v[108:109], v[78:79], s[4:5], -v[136:137]
	v_add_f64 v[114:115], v[140:141], v[114:115]
	v_fma_f64 v[142:143], v[58:59], s[4:5], v[132:133]
	v_add_f64 v[124:125], v[138:139], v[124:125]
	v_add_f64 v[44:45], v[120:121], v[48:49]
	;; [unrolled: 1-line block ×4, first 2 shown]
	v_fma_f64 v[110:111], v[60:61], s[20:21], -v[134:135]
	v_mul_f64 v[120:121], v[96:97], s[18:19]
	v_add_f64 v[122:123], v[128:129], v[50:51]
	v_add_f64 v[48:49], v[108:109], v[114:115]
	v_mul_f64 v[114:115], v[88:89], s[18:19]
	v_fma_f64 v[108:109], v[74:75], s[22:23], v[116:117]
	v_add_f64 v[50:51], v[142:143], v[124:125]
	v_mul_f64 v[124:125], v[94:95], s[36:37]
	v_fma_f64 v[112:113], v[72:73], s[16:17], v[112:113]
	v_fma_f64 v[126:127], v[66:67], s[16:17], v[120:121]
	v_add_f64 v[110:111], v[110:111], v[122:123]
	v_mul_f64 v[122:123], v[76:77], s[36:37]
	v_fma_f64 v[128:129], v[74:75], s[16:17], -v[114:115]
	v_add_f64 v[108:109], v[0:1], v[108:109]
	v_fma_f64 v[116:117], v[58:59], s[4:5], -v[132:133]
	v_mul_f64 v[132:133], v[92:93], s[38:39]
	v_fma_f64 v[134:135], v[68:69], s[20:21], v[124:125]
	v_add_f64 v[126:127], v[2:3], v[126:127]
	v_fma_f64 v[118:119], v[70:71], s[6:7], v[118:119]
	v_mul_f64 v[138:139], v[80:81], s[38:39]
	v_fma_f64 v[140:141], v[72:73], s[20:21], -v[122:123]
	v_add_f64 v[128:129], v[0:1], v[128:129]
	v_add_f64 v[108:109], v[112:113], v[108:109]
	v_mul_f64 v[142:143], v[90:91], s[14:15]
	v_fma_f64 v[112:113], v[62:63], s[4:5], v[132:133]
	v_add_f64 v[126:127], v[134:135], v[126:127]
	v_fma_f64 v[130:131], v[64:65], s[20:21], v[130:131]
	v_mul_f64 v[134:135], v[84:85], s[14:15]
	v_fma_f64 v[144:145], v[70:71], s[4:5], -v[138:139]
	v_add_f64 v[128:129], v[140:141], v[128:129]
	v_add_f64 v[108:109], v[118:119], v[108:109]
	v_fma_f64 v[120:121], v[66:67], s[16:17], -v[120:121]
	v_mul_f64 v[118:119], v[86:87], s[24:25]
	v_fma_f64 v[140:141], v[60:61], s[6:7], v[142:143]
	v_add_f64 v[112:113], v[112:113], v[126:127]
	v_mul_f64 v[126:127], v[82:83], s[24:25]
	v_fma_f64 v[146:147], v[64:65], s[6:7], -v[134:135]
	v_add_f64 v[128:129], v[144:145], v[128:129]
	v_fma_f64 v[136:137], v[78:79], s[4:5], v[136:137]
	v_add_f64 v[108:109], v[130:131], v[108:109]
	v_fma_f64 v[124:125], v[68:69], s[20:21], -v[124:125]
	v_add_f64 v[120:121], v[2:3], v[120:121]
	v_fma_f64 v[130:131], v[58:59], s[22:23], v[118:119]
	v_add_f64 v[112:113], v[140:141], v[112:113]
	v_fma_f64 v[140:141], v[78:79], s[22:23], -v[126:127]
	v_add_f64 v[128:129], v[146:147], v[128:129]
	v_add_f64 v[110:111], v[116:117], v[110:111]
	;; [unrolled: 1-line block ×3, first 2 shown]
	v_mul_f64 v[116:117], v[96:97], s[10:11]
	v_fma_f64 v[132:133], v[62:63], s[4:5], -v[132:133]
	v_fma_f64 v[136:137], v[74:75], s[16:17], v[114:115]
	v_add_f64 v[120:121], v[124:125], v[120:121]
	v_add_f64 v[114:115], v[130:131], v[112:113]
	;; [unrolled: 1-line block ×3, first 2 shown]
	v_fma_f64 v[124:125], v[60:61], s[6:7], -v[142:143]
	v_mul_f64 v[128:129], v[94:95], s[24:25]
	v_fma_f64 v[130:131], v[66:67], s[4:5], v[116:117]
	v_fma_f64 v[122:123], v[72:73], s[20:21], v[122:123]
	v_add_f64 v[136:137], v[0:1], v[136:137]
	v_add_f64 v[120:121], v[132:133], v[120:121]
	v_mul_f64 v[132:133], v[88:89], s[10:11]
	v_add_f64 v[14:15], v[2:3], v[14:15]
	v_add_f64 v[12:13], v[0:1], v[12:13]
	v_mul_f64 v[140:141], v[92:93], s[36:37]
	v_fma_f64 v[142:143], v[68:69], s[22:23], v[128:129]
	v_add_f64 v[130:131], v[2:3], v[130:131]
	v_fma_f64 v[138:139], v[70:71], s[4:5], v[138:139]
	v_add_f64 v[122:123], v[122:123], v[136:137]
	v_add_f64 v[120:121], v[124:125], v[120:121]
	v_mul_f64 v[124:125], v[76:77], s[24:25]
	v_fma_f64 v[136:137], v[74:75], s[4:5], -v[132:133]
	v_add_f64 v[10:11], v[14:15], v[10:11]
	v_add_f64 v[12:13], v[12:13], v[8:9]
	v_fma_f64 v[146:147], v[62:63], s[20:21], v[140:141]
	v_add_f64 v[130:131], v[142:143], v[130:131]
	v_fma_f64 v[134:135], v[64:65], s[6:7], v[134:135]
	v_add_f64 v[122:123], v[138:139], v[122:123]
	v_mul_f64 v[138:139], v[80:81], s[36:37]
	v_fma_f64 v[142:143], v[72:73], s[22:23], -v[124:125]
	v_add_f64 v[136:137], v[0:1], v[136:137]
	v_add_f64 v[6:7], v[10:11], v[6:7]
	v_add_f64 v[4:5], v[12:13], v[4:5]
	v_add_f64 v[130:131], v[146:147], v[130:131]
	v_fma_f64 v[126:127], v[78:79], s[22:23], v[126:127]
	v_fma_f64 v[116:117], v[66:67], s[4:5], -v[116:117]
	v_mul_f64 v[146:147], v[84:85], s[34:35]
	v_fma_f64 v[152:153], v[70:71], s[20:21], -v[138:139]
	v_add_f64 v[136:137], v[142:143], v[136:137]
	v_add_f64 v[122:123], v[134:135], v[122:123]
	v_mul_f64 v[144:145], v[90:91], s[34:35]
	v_add_f64 v[6:7], v[6:7], v[26:27]
	v_add_f64 v[4:5], v[4:5], v[24:25]
	;; [unrolled: 1-line block ×3, first 2 shown]
	v_fma_f64 v[154:155], v[64:65], s[16:17], -v[146:147]
	v_mul_f64 v[96:97], v[96:97], s[14:15]
	v_add_f64 v[136:137], v[152:153], v[136:137]
	v_add_f64 v[116:117], v[126:127], v[122:123]
	v_fma_f64 v[126:127], v[74:75], s[4:5], v[132:133]
	v_mul_f64 v[24:25], v[88:89], s[14:15]
	v_fma_f64 v[118:119], v[58:59], s[22:23], -v[118:119]
	v_mul_f64 v[148:149], v[86:87], s[30:31]
	v_fma_f64 v[150:151], v[60:61], s[16:17], v[144:145]
	v_fma_f64 v[128:129], v[68:69], s[22:23], -v[128:129]
	v_add_f64 v[6:7], v[6:7], v[18:19]
	v_add_f64 v[4:5], v[4:5], v[16:17]
	;; [unrolled: 1-line block ×3, first 2 shown]
	v_fma_f64 v[124:125], v[72:73], s[22:23], v[124:125]
	v_add_f64 v[126:127], v[0:1], v[126:127]
	v_mul_f64 v[94:95], v[94:95], s[10:11]
	v_fma_f64 v[136:137], v[66:67], s[6:7], v[96:97]
	v_fma_f64 v[66:67], v[66:67], s[6:7], -v[96:97]
	v_mul_f64 v[76:77], v[76:77], s[10:11]
	v_fma_f64 v[16:17], v[74:75], s[6:7], v[24:25]
	v_fma_f64 v[134:135], v[58:59], s[6:7], v[148:149]
	v_add_f64 v[130:131], v[150:151], v[130:131]
	v_add_f64 v[118:119], v[118:119], v[120:121]
	v_fma_f64 v[120:121], v[62:63], s[20:21], -v[140:141]
	v_add_f64 v[128:129], v[128:129], v[142:143]
	v_fma_f64 v[24:25], v[74:75], s[6:7], -v[24:25]
	v_add_f64 v[6:7], v[6:7], v[22:23]
	v_add_f64 v[4:5], v[4:5], v[20:21]
	;; [unrolled: 1-line block ×3, first 2 shown]
	v_mul_f64 v[92:93], v[92:93], s[18:19]
	v_fma_f64 v[14:15], v[68:69], s[4:5], v[94:95]
	v_add_f64 v[126:127], v[2:3], v[136:137]
	v_mul_f64 v[18:19], v[80:81], s[18:19]
	v_fma_f64 v[68:69], v[68:69], s[4:5], -v[94:95]
	v_add_f64 v[2:3], v[2:3], v[66:67]
	v_fma_f64 v[66:67], v[72:73], s[4:5], v[76:77]
	v_add_f64 v[16:17], v[0:1], v[16:17]
	v_add_f64 v[122:123], v[134:135], v[130:131]
	v_fma_f64 v[134:135], v[60:61], s[16:17], -v[144:145]
	v_add_f64 v[120:121], v[120:121], v[128:129]
	v_fma_f64 v[138:139], v[70:71], s[20:21], v[138:139]
	v_fma_f64 v[20:21], v[72:73], s[4:5], -v[76:77]
	v_add_f64 v[0:1], v[0:1], v[24:25]
	v_add_f64 v[6:7], v[6:7], v[30:31]
	;; [unrolled: 1-line block ×3, first 2 shown]
	v_mul_f64 v[90:91], v[90:91], s[24:25]
	v_fma_f64 v[10:11], v[62:63], s[16:17], v[92:93]
	v_add_f64 v[12:13], v[14:15], v[126:127]
	v_mul_f64 v[26:27], v[84:85], s[24:25]
	v_fma_f64 v[22:23], v[62:63], s[16:17], -v[92:93]
	v_add_f64 v[2:3], v[68:69], v[2:3]
	v_fma_f64 v[24:25], v[70:71], s[16:17], v[18:19]
	v_add_f64 v[16:17], v[66:67], v[16:17]
	v_fma_f64 v[128:129], v[58:59], s[6:7], -v[148:149]
	v_add_f64 v[120:121], v[134:135], v[120:121]
	v_fma_f64 v[134:135], v[64:65], s[16:17], v[146:147]
	v_add_f64 v[124:125], v[138:139], v[124:125]
	v_fma_f64 v[18:19], v[70:71], s[16:17], -v[18:19]
	v_add_f64 v[0:1], v[20:21], v[0:1]
	v_add_f64 v[6:7], v[6:7], v[34:35]
	;; [unrolled: 1-line block ×3, first 2 shown]
	v_mul_f64 v[86:87], v[86:87], s[26:27]
	v_add_f64 v[10:11], v[10:11], v[12:13]
	v_mul_f64 v[12:13], v[82:83], s[26:27]
	v_fma_f64 v[20:21], v[60:61], s[22:23], -v[90:91]
	v_add_f64 v[2:3], v[22:23], v[2:3]
	v_fma_f64 v[22:23], v[64:65], s[22:23], v[26:27]
	v_add_f64 v[16:17], v[24:25], v[16:17]
	v_mul_f64 v[150:151], v[82:83], s[30:31]
	v_add_f64 v[8:9], v[128:129], v[120:121]
	v_add_f64 v[120:121], v[134:135], v[124:125]
	v_fma_f64 v[124:125], v[60:61], s[22:23], v[90:91]
	v_fma_f64 v[24:25], v[64:65], s[22:23], -v[26:27]
	v_add_f64 v[0:1], v[18:19], v[0:1]
	v_add_f64 v[6:7], v[6:7], v[42:43]
	;; [unrolled: 1-line block ×3, first 2 shown]
	v_fma_f64 v[18:19], v[58:59], s[20:21], -v[86:87]
	v_add_f64 v[2:3], v[20:21], v[2:3]
	v_fma_f64 v[20:21], v[78:79], s[20:21], v[12:13]
	v_add_f64 v[16:17], v[22:23], v[16:17]
	v_fma_f64 v[14:15], v[78:79], s[6:7], v[150:151]
	v_fma_f64 v[130:131], v[78:79], s[6:7], -v[150:151]
	v_fma_f64 v[22:23], v[58:59], s[20:21], v[86:87]
	v_add_f64 v[26:27], v[124:125], v[10:11]
	v_fma_f64 v[28:29], v[78:79], s[20:21], -v[12:13]
	v_add_f64 v[24:25], v[24:25], v[0:1]
	v_add_f64 v[12:13], v[6:7], v[38:39]
	;; [unrolled: 1-line block ×6, first 2 shown]
	v_mul_i32_i24_e32 v4, 0xb0, v107
	v_add3_u32 v4, 0, v4, v106
	v_add_f64 v[120:121], v[130:131], v[132:133]
	v_add_f64 v[16:17], v[22:23], v[26:27]
	;; [unrolled: 1-line block ×3, first 2 shown]
	ds_write_b128 v4, v[10:13]
	ds_write_b128 v4, v[0:3] offset:16
	ds_write_b128 v4, v[6:9] offset:32
	;; [unrolled: 1-line block ×10, first 2 shown]
.LBB0_14:
	s_or_b64 exec, exec, s[28:29]
	v_lshlrev_b32_e32 v0, 2, v98
	v_mov_b32_e32 v1, 0
	v_lshlrev_b64 v[4:5], 4, v[0:1]
	v_mov_b32_e32 v3, s9
	v_add_co_u32_e64 v20, s[0:1], s8, v4
	v_addc_co_u32_e64 v21, s[0:1], v3, v5, s[0:1]
	s_waitcnt lgkmcnt(0)
	; wave barrier
	s_waitcnt lgkmcnt(0)
	global_load_dwordx4 v[4:7], v[20:21], off
	global_load_dwordx4 v[8:11], v[20:21], off offset:16
	global_load_dwordx4 v[12:15], v[20:21], off offset:48
	;; [unrolled: 1-line block ×3, first 2 shown]
	s_movk_i32 s0, 0x75
	v_mul_lo_u16_sdwa v0, v103, s0 dst_sel:DWORD dst_unused:UNUSED_PAD src0_sel:BYTE_0 src1_sel:DWORD
	v_sub_u16_sdwa v2, v103, v0 dst_sel:DWORD dst_unused:UNUSED_PAD src0_sel:DWORD src1_sel:BYTE_1
	v_lshrrev_b16_e32 v2, 1, v2
	v_and_b32_e32 v2, 0x7f, v2
	v_add_u16_sdwa v0, v2, v0 dst_sel:DWORD dst_unused:UNUSED_PAD src0_sel:DWORD src1_sel:BYTE_1
	v_lshrrev_b16_e32 v0, 3, v0
	v_mul_lo_u16_e32 v0, 11, v0
	v_sub_u16_e32 v0, v103, v0
	v_mov_b32_e32 v2, 6
	v_lshlrev_b32_sdwa v2, v2, v0 dst_sel:DWORD dst_unused:UNUSED_PAD src0_sel:DWORD src1_sel:BYTE_0
	global_load_dwordx4 v[20:23], v2, s[8:9]
	global_load_dwordx4 v[24:27], v2, s[8:9] offset:16
	global_load_dwordx4 v[28:31], v2, s[8:9] offset:32
	;; [unrolled: 1-line block ×3, first 2 shown]
	ds_read_b128 v[36:39], v105 offset:528
	ds_read_b128 v[40:43], v105 offset:704
	;; [unrolled: 1-line block ×4, first 2 shown]
	ds_read_b128 v[52:55], v104
	ds_read_b128 v[58:61], v105 offset:352
	ds_read_b128 v[62:65], v105 offset:1056
	;; [unrolled: 1-line block ×9, first 2 shown]
	s_mov_b32 s4, 0x134454ff
	s_mov_b32 s5, 0xbfee6f0e
	;; [unrolled: 1-line block ×8, first 2 shown]
	v_lshlrev_b32_e32 v2, 4, v107
	v_add3_u32 v2, 0, v2, v106
	ds_read_b128 v[94:97], v2
	s_mov_b32 s14, 0x372fe950
	s_mov_b32 s15, 0x3fd3c6ef
	s_waitcnt lgkmcnt(0)
	; wave barrier
	s_waitcnt vmcnt(7) lgkmcnt(0)
	v_mul_f64 v[108:109], v[38:39], v[6:7]
	s_waitcnt vmcnt(6)
	v_mul_f64 v[112:113], v[64:65], v[10:11]
	s_waitcnt vmcnt(5)
	;; [unrolled: 2-line block ×3, first 2 shown]
	v_mul_f64 v[116:117], v[46:47], v[18:19]
	v_mul_f64 v[110:111], v[36:37], v[6:7]
	;; [unrolled: 1-line block ×9, first 2 shown]
	v_fma_f64 v[36:37], v[36:37], v[4:5], v[108:109]
	v_fma_f64 v[62:63], v[62:63], v[8:9], v[112:113]
	;; [unrolled: 1-line block ×4, first 2 shown]
	v_mul_f64 v[126:127], v[72:73], v[10:11]
	v_mul_f64 v[10:11], v[70:71], v[10:11]
	;; [unrolled: 1-line block ×4, first 2 shown]
	s_waitcnt vmcnt(3)
	v_mul_f64 v[132:133], v[68:69], v[22:23]
	v_mul_f64 v[22:23], v[66:67], v[22:23]
	v_fma_f64 v[38:39], v[38:39], v[4:5], -v[110:111]
	v_fma_f64 v[64:65], v[64:65], v[8:9], -v[114:115]
	;; [unrolled: 1-line block ×5, first 2 shown]
	v_fma_f64 v[86:87], v[86:87], v[12:13], v[130:131]
	v_fma_f64 v[88:89], v[88:89], v[12:13], -v[14:15]
	v_add_f64 v[6:7], v[62:63], v[44:45]
	v_add_f64 v[12:13], v[36:37], v[78:79]
	s_waitcnt vmcnt(2)
	v_mul_f64 v[134:135], v[76:77], v[26:27]
	v_mul_f64 v[26:27], v[74:75], v[26:27]
	s_waitcnt vmcnt(1)
	v_mul_f64 v[136:137], v[84:85], v[30:31]
	v_mul_f64 v[30:31], v[82:83], v[30:31]
	v_fma_f64 v[70:71], v[70:71], v[8:9], v[126:127]
	v_fma_f64 v[72:73], v[72:73], v[8:9], -v[10:11]
	v_fma_f64 v[48:49], v[48:49], v[16:17], v[128:129]
	v_fma_f64 v[50:51], v[50:51], v[16:17], -v[18:19]
	;; [unrolled: 2-line block ×3, first 2 shown]
	v_add_f64 v[8:9], v[38:39], -v[80:81]
	v_add_f64 v[10:11], v[64:65], -v[46:47]
	;; [unrolled: 1-line block ×4, first 2 shown]
	v_fma_f64 v[6:7], v[6:7], -0.5, v[52:53]
	v_add_f64 v[20:21], v[54:55], v[38:39]
	v_fma_f64 v[12:13], v[12:13], -0.5, v[52:53]
	v_fma_f64 v[74:75], v[74:75], v[24:25], v[134:135]
	v_fma_f64 v[76:77], v[76:77], v[24:25], -v[26:27]
	v_add_f64 v[24:25], v[64:65], v[46:47]
	s_waitcnt vmcnt(0)
	v_mul_f64 v[138:139], v[92:93], v[34:35]
	v_mul_f64 v[34:35], v[90:91], v[34:35]
	v_fma_f64 v[82:83], v[82:83], v[28:29], v[136:137]
	v_fma_f64 v[84:85], v[84:85], v[28:29], -v[30:31]
	v_add_f64 v[18:19], v[62:63], -v[36:37]
	v_add_f64 v[22:23], v[44:45], -v[78:79]
	v_fma_f64 v[28:29], v[8:9], s[4:5], v[6:7]
	v_add_f64 v[14:15], v[14:15], v[16:17]
	v_add_f64 v[16:17], v[20:21], v[64:65]
	v_fma_f64 v[6:7], v[8:9], s[6:7], v[6:7]
	v_fma_f64 v[20:21], v[10:11], s[6:7], v[12:13]
	v_add_f64 v[26:27], v[36:37], -v[78:79]
	v_fma_f64 v[24:25], v[24:25], -0.5, v[54:55]
	v_fma_f64 v[12:13], v[10:11], s[4:5], v[12:13]
	v_fma_f64 v[90:91], v[90:91], v[32:33], v[138:139]
	v_fma_f64 v[92:93], v[92:93], v[32:33], -v[34:35]
	v_fma_f64 v[28:29], v[10:11], s[0:1], v[28:29]
	v_fma_f64 v[6:7], v[10:11], s[10:11], v[6:7]
	;; [unrolled: 1-line block ×3, first 2 shown]
	v_add_f64 v[18:19], v[18:19], v[22:23]
	v_add_f64 v[32:33], v[38:39], v[80:81]
	v_fma_f64 v[40:41], v[40:41], v[4:5], v[124:125]
	v_fma_f64 v[20:21], v[8:9], s[10:11], v[12:13]
	v_add_f64 v[22:23], v[16:17], v[46:47]
	v_fma_f64 v[30:31], v[26:27], s[6:7], v[24:25]
	v_add_f64 v[34:35], v[62:63], -v[44:45]
	v_add_f64 v[4:5], v[52:53], v[36:37]
	v_fma_f64 v[16:17], v[18:19], s[14:15], v[10:11]
	v_fma_f64 v[10:11], v[32:33], -0.5, v[54:55]
	v_fma_f64 v[8:9], v[14:15], s[14:15], v[28:29]
	v_fma_f64 v[12:13], v[14:15], s[14:15], v[6:7]
	;; [unrolled: 1-line block ×3, first 2 shown]
	v_add_f64 v[6:7], v[22:23], v[80:81]
	v_fma_f64 v[14:15], v[34:35], s[10:11], v[30:31]
	v_add_f64 v[18:19], v[38:39], -v[64:65]
	v_add_f64 v[22:23], v[80:81], -v[46:47]
	v_add_f64 v[28:29], v[94:95], v[40:41]
	v_add_f64 v[30:31], v[70:71], v[48:49]
	v_fma_f64 v[24:25], v[26:27], s[4:5], v[24:25]
	v_fma_f64 v[32:33], v[34:35], s[4:5], v[10:11]
	v_add_f64 v[36:37], v[64:65], -v[38:39]
	v_add_f64 v[38:39], v[46:47], -v[80:81]
	v_fma_f64 v[10:11], v[34:35], s[6:7], v[10:11]
	v_add_f64 v[4:5], v[4:5], v[62:63]
	v_add_f64 v[18:19], v[18:19], v[22:23]
	;; [unrolled: 1-line block ×3, first 2 shown]
	v_fma_f64 v[28:29], v[30:31], -0.5, v[94:95]
	v_add_f64 v[30:31], v[42:43], -v[88:89]
	v_fma_f64 v[24:25], v[34:35], s[0:1], v[24:25]
	v_fma_f64 v[32:33], v[26:27], s[10:11], v[32:33]
	v_add_f64 v[34:35], v[36:37], v[38:39]
	v_fma_f64 v[26:27], v[26:27], s[0:1], v[10:11]
	v_add_f64 v[4:5], v[4:5], v[44:45]
	v_add_f64 v[36:37], v[40:41], v[86:87]
	;; [unrolled: 1-line block ×3, first 2 shown]
	v_fma_f64 v[44:45], v[30:31], s[4:5], v[28:29]
	v_add_f64 v[46:47], v[72:73], -v[50:51]
	v_fma_f64 v[10:11], v[18:19], s[14:15], v[14:15]
	v_fma_f64 v[14:15], v[18:19], s[14:15], v[24:25]
	v_fma_f64 v[18:19], v[34:35], s[14:15], v[32:33]
	v_fma_f64 v[22:23], v[34:35], s[14:15], v[26:27]
	v_add_f64 v[32:33], v[40:41], -v[70:71]
	v_add_f64 v[34:35], v[86:87], -v[48:49]
	v_fma_f64 v[28:29], v[30:31], s[6:7], v[28:29]
	v_fma_f64 v[26:27], v[36:37], -0.5, v[94:95]
	v_add_f64 v[24:25], v[38:39], v[86:87]
	v_fma_f64 v[36:37], v[46:47], s[0:1], v[44:45]
	v_add_f64 v[38:39], v[96:97], v[42:43]
	v_add_f64 v[44:45], v[72:73], v[50:51]
	v_add_f64 v[54:55], v[70:71], -v[40:41]
	v_add_f64 v[32:33], v[32:33], v[34:35]
	v_fma_f64 v[34:35], v[46:47], s[10:11], v[28:29]
	v_fma_f64 v[52:53], v[46:47], s[6:7], v[26:27]
	v_add_f64 v[62:63], v[48:49], -v[86:87]
	v_fma_f64 v[26:27], v[46:47], s[4:5], v[26:27]
	v_add_f64 v[38:39], v[38:39], v[72:73]
	v_fma_f64 v[44:45], v[44:45], -0.5, v[96:97]
	v_add_f64 v[46:47], v[40:41], -v[86:87]
	v_fma_f64 v[28:29], v[32:33], s[14:15], v[36:37]
	v_fma_f64 v[32:33], v[32:33], s[14:15], v[34:35]
	v_add_f64 v[34:35], v[42:43], v[88:89]
	v_fma_f64 v[40:41], v[30:31], s[0:1], v[52:53]
	v_add_f64 v[52:53], v[54:55], v[62:63]
	v_fma_f64 v[26:27], v[30:31], s[10:11], v[26:27]
	v_add_f64 v[30:31], v[38:39], v[50:51]
	v_fma_f64 v[38:39], v[46:47], s[6:7], v[44:45]
	v_add_f64 v[48:49], v[70:71], -v[48:49]
	v_add_f64 v[54:55], v[74:75], v[82:83]
	v_add_f64 v[62:63], v[42:43], -v[72:73]
	v_add_f64 v[64:65], v[88:89], -v[50:51]
	v_fma_f64 v[34:35], v[34:35], -0.5, v[96:97]
	v_fma_f64 v[36:37], v[52:53], s[14:15], v[40:41]
	v_fma_f64 v[40:41], v[52:53], s[14:15], v[26:27]
	v_add_f64 v[26:27], v[30:31], v[88:89]
	v_fma_f64 v[30:31], v[48:49], s[10:11], v[38:39]
	v_add_f64 v[38:39], v[58:59], v[66:67]
	v_fma_f64 v[44:45], v[46:47], s[4:5], v[44:45]
	v_fma_f64 v[52:53], v[54:55], -0.5, v[58:59]
	v_add_f64 v[54:55], v[68:69], -v[92:93]
	v_add_f64 v[62:63], v[62:63], v[64:65]
	v_fma_f64 v[64:65], v[48:49], s[4:5], v[34:35]
	v_add_f64 v[42:43], v[72:73], -v[42:43]
	v_add_f64 v[50:51], v[50:51], -v[88:89]
	v_fma_f64 v[34:35], v[48:49], s[6:7], v[34:35]
	v_add_f64 v[38:39], v[38:39], v[74:75]
	v_fma_f64 v[44:45], v[48:49], s[0:1], v[44:45]
	v_add_f64 v[48:49], v[66:67], v[90:91]
	v_add_f64 v[4:5], v[4:5], v[78:79]
	v_fma_f64 v[70:71], v[54:55], s[4:5], v[52:53]
	v_add_f64 v[72:73], v[76:77], -v[84:85]
	v_add_f64 v[78:79], v[66:67], -v[74:75]
	;; [unrolled: 1-line block ×3, first 2 shown]
	v_fma_f64 v[64:65], v[46:47], s[10:11], v[64:65]
	v_add_f64 v[42:43], v[42:43], v[50:51]
	v_fma_f64 v[46:47], v[46:47], s[0:1], v[34:35]
	v_add_f64 v[50:51], v[38:39], v[82:83]
	v_fma_f64 v[58:59], v[48:49], -0.5, v[58:59]
	v_fma_f64 v[70:71], v[72:73], s[0:1], v[70:71]
	v_fma_f64 v[34:35], v[62:63], s[14:15], v[44:45]
	v_add_f64 v[78:79], v[78:79], v[80:81]
	v_add_f64 v[80:81], v[60:61], v[68:69]
	v_fma_f64 v[38:39], v[42:43], s[14:15], v[64:65]
	v_fma_f64 v[42:43], v[42:43], s[14:15], v[46:47]
	v_add_f64 v[46:47], v[76:77], v[84:85]
	v_add_f64 v[44:45], v[50:51], v[90:91]
	v_fma_f64 v[50:51], v[54:55], s[6:7], v[52:53]
	v_fma_f64 v[52:53], v[72:73], s[6:7], v[58:59]
	v_add_f64 v[64:65], v[68:69], v[92:93]
	v_fma_f64 v[30:31], v[62:63], s[14:15], v[30:31]
	v_fma_f64 v[48:49], v[78:79], s[14:15], v[70:71]
	v_add_f64 v[62:63], v[74:75], -v[66:67]
	v_add_f64 v[70:71], v[82:83], -v[90:91]
	v_fma_f64 v[46:47], v[46:47], -0.5, v[60:61]
	v_add_f64 v[66:67], v[66:67], -v[90:91]
	v_fma_f64 v[86:87], v[54:55], s[0:1], v[52:53]
	v_add_f64 v[52:53], v[74:75], -v[82:83]
	v_fma_f64 v[60:61], v[64:65], -0.5, v[60:61]
	v_add_f64 v[64:65], v[80:81], v[76:77]
	v_fma_f64 v[50:51], v[72:73], s[10:11], v[50:51]
	v_add_f64 v[62:63], v[62:63], v[70:71]
	v_fma_f64 v[58:59], v[72:73], s[4:5], v[58:59]
	v_fma_f64 v[70:71], v[66:67], s[6:7], v[46:47]
	v_add_f64 v[72:73], v[68:69], -v[76:77]
	v_add_f64 v[74:75], v[92:93], -v[84:85]
	v_fma_f64 v[80:81], v[52:53], s[4:5], v[60:61]
	v_add_f64 v[68:69], v[76:77], -v[68:69]
	v_add_f64 v[76:77], v[84:85], -v[92:93]
	v_fma_f64 v[60:61], v[52:53], s[6:7], v[60:61]
	v_fma_f64 v[46:47], v[66:67], s[4:5], v[46:47]
	v_add_f64 v[64:65], v[64:65], v[84:85]
	v_fma_f64 v[70:71], v[52:53], s[10:11], v[70:71]
	v_add_f64 v[72:73], v[72:73], v[74:75]
	v_fma_f64 v[80:81], v[66:67], s[10:11], v[80:81]
	v_fma_f64 v[54:55], v[54:55], s[10:11], v[58:59]
	v_add_f64 v[68:69], v[68:69], v[76:77]
	v_fma_f64 v[66:67], v[66:67], s[0:1], v[60:61]
	;; [unrolled: 3-line block ×3, first 2 shown]
	v_fma_f64 v[50:51], v[72:73], s[14:15], v[70:71]
	v_fma_f64 v[58:59], v[62:63], s[14:15], v[86:87]
	;; [unrolled: 1-line block ×6, first 2 shown]
	ds_write_b128 v105, v[4:7]
	ds_write_b128 v105, v[8:11] offset:176
	ds_write_b128 v105, v[16:19] offset:352
	;; [unrolled: 1-line block ×9, first 2 shown]
	v_mov_b32_e32 v4, 4
	v_lshlrev_b32_sdwa v0, v4, v0 dst_sel:DWORD dst_unused:UNUSED_PAD src0_sel:DWORD src1_sel:BYTE_0
	v_add3_u32 v0, 0, v0, v106
	ds_write_b128 v0, v[44:47] offset:1760
	ds_write_b128 v0, v[48:51] offset:1936
	;; [unrolled: 1-line block ×5, first 2 shown]
	v_lshlrev_b32_e32 v0, 1, v98
	v_lshlrev_b64 v[4:5], 4, v[0:1]
	v_lshlrev_b32_e32 v0, 1, v107
	v_add_co_u32_e64 v8, s[0:1], s8, v4
	v_lshlrev_b64 v[12:13], 4, v[0:1]
	v_addc_co_u32_e64 v9, s[0:1], v3, v5, s[0:1]
	v_add_co_u32_e64 v20, s[0:1], s8, v12
	s_waitcnt lgkmcnt(0)
	; wave barrier
	s_waitcnt lgkmcnt(0)
	global_load_dwordx4 v[4:7], v[8:9], off offset:720
	s_nop 0
	global_load_dwordx4 v[8:11], v[8:9], off offset:704
	v_addc_co_u32_e64 v21, s[0:1], v3, v13, s[0:1]
	global_load_dwordx4 v[12:15], v[20:21], off offset:704
	global_load_dwordx4 v[16:19], v[20:21], off offset:720
	v_lshlrev_b32_e32 v0, 1, v103
	v_lshlrev_b64 v[20:21], 4, v[0:1]
	v_lshlrev_b32_e32 v0, 1, v101
	v_add_co_u32_e64 v28, s[0:1], s8, v20
	v_addc_co_u32_e64 v29, s[0:1], v3, v21, s[0:1]
	global_load_dwordx4 v[20:23], v[28:29], off offset:720
	global_load_dwordx4 v[24:27], v[28:29], off offset:704
	v_lshlrev_b64 v[28:29], 4, v[0:1]
	v_lshlrev_b32_e32 v0, 1, v100
	v_add_co_u32_e64 v36, s[0:1], s8, v28
	v_lshlrev_b64 v[0:1], 4, v[0:1]
	v_addc_co_u32_e64 v37, s[0:1], v3, v29, s[0:1]
	v_add_co_u32_e64 v0, s[0:1], s8, v0
	v_addc_co_u32_e64 v1, s[0:1], v3, v1, s[0:1]
	global_load_dwordx4 v[28:31], v[36:37], off offset:704
	global_load_dwordx4 v[32:35], v[36:37], off offset:720
	s_nop 0
	global_load_dwordx4 v[36:39], v[0:1], off offset:704
	global_load_dwordx4 v[40:43], v[0:1], off offset:720
	ds_read_b128 v[44:47], v105 offset:1760
	ds_read_b128 v[48:51], v2
	ds_read_b128 v[52:55], v105 offset:880
	ds_read_b128 v[58:61], v105 offset:1056
	ds_read_b128 v[62:65], v104
	ds_read_b128 v[66:69], v105 offset:352
	ds_read_b128 v[70:73], v105 offset:1936
	;; [unrolled: 1-line block ×10, first 2 shown]
	s_mov_b32 s0, 0xe8584caa
	s_mov_b32 s1, 0xbfebb67a
	s_mov_b32 s5, 0x3febb67a
	s_mov_b32 s4, s0
	s_waitcnt lgkmcnt(0)
	; wave barrier
	s_waitcnt vmcnt(9) lgkmcnt(0)
	v_mul_f64 v[114:115], v[46:47], v[6:7]
	s_waitcnt vmcnt(8)
	v_mul_f64 v[0:1], v[54:55], v[10:11]
	v_mul_f64 v[10:11], v[52:53], v[10:11]
	;; [unrolled: 1-line block ×3, first 2 shown]
	s_waitcnt vmcnt(7)
	v_mul_f64 v[116:117], v[60:61], v[14:15]
	v_mul_f64 v[14:15], v[58:59], v[14:15]
	v_fma_f64 v[44:45], v[44:45], v[4:5], v[114:115]
	v_fma_f64 v[0:1], v[52:53], v[8:9], v[0:1]
	v_fma_f64 v[9:10], v[54:55], v[8:9], -v[10:11]
	s_waitcnt vmcnt(6)
	v_mul_f64 v[52:53], v[72:73], v[18:19]
	v_fma_f64 v[5:6], v[46:47], v[4:5], -v[6:7]
	v_fma_f64 v[46:47], v[58:59], v[12:13], v[116:117]
	v_mul_f64 v[3:4], v[70:71], v[18:19]
	v_fma_f64 v[13:14], v[60:61], v[12:13], -v[14:15]
	s_waitcnt vmcnt(4)
	v_mul_f64 v[7:8], v[80:81], v[26:27]
	v_mul_f64 v[11:12], v[78:79], v[26:27]
	;; [unrolled: 1-line block ×4, first 2 shown]
	v_fma_f64 v[18:19], v[70:71], v[16:17], v[52:53]
	v_fma_f64 v[54:55], v[72:73], v[16:17], -v[3:4]
	s_waitcnt vmcnt(3)
	v_mul_f64 v[52:53], v[84:85], v[30:31]
	v_mul_f64 v[3:4], v[82:83], v[30:31]
	v_fma_f64 v[30:31], v[78:79], v[24:25], v[7:8]
	v_fma_f64 v[58:59], v[80:81], v[24:25], -v[11:12]
	s_waitcnt vmcnt(2)
	v_mul_f64 v[7:8], v[108:109], v[34:35]
	v_fma_f64 v[60:61], v[74:75], v[20:21], v[26:27]
	v_fma_f64 v[70:71], v[76:77], v[20:21], -v[22:23]
	v_mul_f64 v[11:12], v[106:107], v[34:35]
	v_add_f64 v[15:16], v[0:1], v[44:45]
	s_waitcnt vmcnt(0)
	v_mul_f64 v[20:21], v[112:113], v[42:43]
	v_mul_f64 v[22:23], v[110:111], v[42:43]
	v_fma_f64 v[52:53], v[82:83], v[28:29], v[52:53]
	v_fma_f64 v[72:73], v[84:85], v[28:29], -v[3:4]
	v_mul_f64 v[3:4], v[96:97], v[38:39]
	v_fma_f64 v[74:75], v[106:107], v[32:33], v[7:8]
	v_mul_f64 v[7:8], v[94:95], v[38:39]
	v_fma_f64 v[76:77], v[108:109], v[32:33], -v[11:12]
	v_add_f64 v[11:12], v[62:63], v[0:1]
	v_fma_f64 v[15:16], v[15:16], -0.5, v[62:63]
	v_add_f64 v[24:25], v[9:10], -v[5:6]
	v_fma_f64 v[80:81], v[110:111], v[40:41], v[20:21]
	v_fma_f64 v[82:83], v[112:113], v[40:41], -v[22:23]
	v_add_f64 v[20:21], v[9:10], v[5:6]
	v_add_f64 v[22:23], v[46:47], v[18:19]
	v_fma_f64 v[78:79], v[94:95], v[36:37], v[3:4]
	v_fma_f64 v[62:63], v[96:97], v[36:37], -v[7:8]
	v_add_f64 v[3:4], v[11:12], v[44:45]
	v_fma_f64 v[7:8], v[24:25], s[0:1], v[15:16]
	v_add_f64 v[9:10], v[64:65], v[9:10]
	v_add_f64 v[0:1], v[0:1], -v[44:45]
	v_fma_f64 v[20:21], v[20:21], -0.5, v[64:65]
	v_fma_f64 v[11:12], v[24:25], s[4:5], v[15:16]
	v_add_f64 v[15:16], v[48:49], v[46:47]
	v_add_f64 v[24:25], v[13:14], v[54:55]
	v_fma_f64 v[22:23], v[22:23], -0.5, v[48:49]
	v_add_f64 v[26:27], v[13:14], -v[54:55]
	v_add_f64 v[28:29], v[50:51], v[13:14]
	v_add_f64 v[5:6], v[9:10], v[5:6]
	v_fma_f64 v[9:10], v[0:1], s[4:5], v[20:21]
	v_fma_f64 v[13:14], v[0:1], s[0:1], v[20:21]
	v_add_f64 v[15:16], v[15:16], v[18:19]
	v_add_f64 v[0:1], v[30:31], v[60:61]
	v_fma_f64 v[32:33], v[24:25], -0.5, v[50:51]
	v_add_f64 v[34:35], v[46:47], -v[18:19]
	v_fma_f64 v[19:20], v[26:27], s[0:1], v[22:23]
	v_fma_f64 v[23:24], v[26:27], s[4:5], v[22:23]
	v_add_f64 v[17:18], v[28:29], v[54:55]
	v_add_f64 v[27:28], v[58:59], v[70:71]
	v_add_f64 v[36:37], v[66:67], v[30:31]
	v_fma_f64 v[0:1], v[0:1], -0.5, v[66:67]
	v_add_f64 v[38:39], v[58:59], -v[70:71]
	v_fma_f64 v[21:22], v[34:35], s[4:5], v[32:33]
	v_add_f64 v[40:41], v[52:53], v[74:75]
	v_fma_f64 v[25:26], v[34:35], s[0:1], v[32:33]
	v_add_f64 v[33:34], v[68:69], v[58:59]
	v_fma_f64 v[42:43], v[27:28], -0.5, v[68:69]
	v_add_f64 v[44:45], v[30:31], -v[60:61]
	v_add_f64 v[46:47], v[86:87], v[52:53]
	v_add_f64 v[27:28], v[36:37], v[60:61]
	v_fma_f64 v[31:32], v[38:39], s[0:1], v[0:1]
	v_fma_f64 v[48:49], v[40:41], -0.5, v[86:87]
	v_add_f64 v[50:51], v[72:73], -v[76:77]
	v_fma_f64 v[35:36], v[38:39], s[4:5], v[0:1]
	v_add_f64 v[29:30], v[33:34], v[70:71]
	v_fma_f64 v[33:34], v[44:45], s[4:5], v[42:43]
	v_add_f64 v[0:1], v[72:73], v[76:77]
	;; [unrolled: 2-line block ×3, first 2 shown]
	v_add_f64 v[41:42], v[78:79], v[80:81]
	v_add_f64 v[45:46], v[62:63], v[82:83]
	v_fma_f64 v[43:44], v[50:51], s[0:1], v[48:49]
	v_fma_f64 v[47:48], v[50:51], s[4:5], v[48:49]
	v_add_f64 v[49:50], v[88:89], v[72:73]
	v_fma_f64 v[0:1], v[0:1], -0.5, v[88:89]
	v_add_f64 v[51:52], v[52:53], -v[74:75]
	v_add_f64 v[53:54], v[90:91], v[78:79]
	v_fma_f64 v[60:61], v[41:42], -0.5, v[90:91]
	v_add_f64 v[64:65], v[62:63], -v[82:83]
	;; [unrolled: 3-line block ×3, first 2 shown]
	v_add_f64 v[41:42], v[49:50], v[76:77]
	v_fma_f64 v[45:46], v[51:52], s[4:5], v[0:1]
	v_fma_f64 v[49:50], v[51:52], s[0:1], v[0:1]
	v_add_f64 v[51:52], v[53:54], v[80:81]
	v_fma_f64 v[58:59], v[64:65], s[0:1], v[60:61]
	v_fma_f64 v[62:63], v[64:65], s[4:5], v[60:61]
	;; [unrolled: 3-line block ×3, first 2 shown]
	ds_write_b128 v105, v[3:6]
	ds_write_b128 v105, v[7:10] offset:880
	ds_write_b128 v105, v[11:14] offset:1760
	ds_write_b128 v2, v[15:18]
	ds_write_b128 v2, v[19:22] offset:880
	ds_write_b128 v2, v[23:26] offset:1760
	;; [unrolled: 1-line block ×11, first 2 shown]
	s_waitcnt lgkmcnt(0)
	; wave barrier
	s_waitcnt lgkmcnt(0)
	s_and_saveexec_b64 s[0:1], vcc
	s_cbranch_execz .LBB0_16
; %bb.15:
	v_mad_u64_u32 v[0:1], s[0:1], s2, v98, 0
	v_mad_u64_u32 v[8:9], s[0:1], s2, v102, 0
	;; [unrolled: 1-line block ×3, first 2 shown]
	v_mov_b32_e32 v2, s13
	v_add_co_u32_e32 v15, vcc, s12, v56
	v_lshlrev_b64 v[0:1], 4, v[0:1]
	v_addc_co_u32_e32 v16, vcc, v2, v57, vcc
	v_add_co_u32_e32 v10, vcc, v15, v0
	v_mov_b32_e32 v4, v9
	v_addc_co_u32_e32 v11, vcc, v16, v1, vcc
	ds_read_b128 v[0:3], v104
	v_mad_u64_u32 v[12:13], s[0:1], s3, v102, v[4:5]
	ds_read_b128 v[4:7], v104 offset:176
	v_mad_u64_u32 v[13:14], s[0:1], s2, v103, 0
	s_waitcnt lgkmcnt(1)
	global_store_dwordx4 v[10:11], v[0:3], off
	v_mov_b32_e32 v9, v12
	v_mov_b32_e32 v2, v14
	v_mad_u64_u32 v[2:3], s[0:1], s3, v103, v[2:3]
	v_lshlrev_b64 v[0:1], 4, v[8:9]
	v_mad_u64_u32 v[8:9], s[0:1], s2, v101, 0
	v_add_co_u32_e32 v0, vcc, v15, v0
	v_addc_co_u32_e32 v1, vcc, v16, v1, vcc
	v_mov_b32_e32 v14, v2
	s_waitcnt lgkmcnt(0)
	global_store_dwordx4 v[0:1], v[4:7], off
	v_lshlrev_b64 v[0:1], 4, v[13:14]
	v_mov_b32_e32 v4, v9
	v_add_co_u32_e32 v10, vcc, v15, v0
	v_addc_co_u32_e32 v11, vcc, v16, v1, vcc
	ds_read_b128 v[0:3], v104 offset:352
	v_mad_u64_u32 v[12:13], s[0:1], s3, v101, v[4:5]
	ds_read_b128 v[4:7], v104 offset:528
	v_mad_u64_u32 v[13:14], s[0:1], s2, v100, 0
	s_waitcnt lgkmcnt(1)
	global_store_dwordx4 v[10:11], v[0:3], off
	v_mov_b32_e32 v9, v12
	v_mov_b32_e32 v2, v14
	v_mad_u64_u32 v[2:3], s[0:1], s3, v100, v[2:3]
	v_lshlrev_b64 v[0:1], 4, v[8:9]
	v_mad_u64_u32 v[8:9], s[0:1], s2, v99, 0
	v_add_co_u32_e32 v0, vcc, v15, v0
	v_addc_co_u32_e32 v1, vcc, v16, v1, vcc
	v_mov_b32_e32 v14, v2
	s_waitcnt lgkmcnt(0)
	global_store_dwordx4 v[0:1], v[4:7], off
	v_lshlrev_b64 v[0:1], 4, v[13:14]
	v_add_u32_e32 v17, 0x42, v98
	v_add_co_u32_e32 v10, vcc, v15, v0
	v_mov_b32_e32 v0, v9
	v_mad_u64_u32 v[12:13], s[0:1], s3, v99, v[0:1]
	v_addc_co_u32_e32 v11, vcc, v16, v1, vcc
	ds_read_b128 v[0:3], v104 offset:704
	ds_read_b128 v[4:7], v104 offset:880
	v_mad_u64_u32 v[13:14], s[0:1], s2, v17, 0
	v_mov_b32_e32 v9, v12
	s_waitcnt lgkmcnt(1)
	global_store_dwordx4 v[10:11], v[0:3], off
	s_nop 0
	v_mov_b32_e32 v2, v14
	v_mad_u64_u32 v[2:3], s[0:1], s3, v17, v[2:3]
	v_lshlrev_b64 v[0:1], 4, v[8:9]
	v_add_u32_e32 v17, 0x58, v98
	v_mov_b32_e32 v14, v2
	v_add_u32_e32 v2, 0x4d, v98
	v_add_co_u32_e32 v0, vcc, v15, v0
	v_mad_u64_u32 v[8:9], s[0:1], s2, v2, 0
	v_addc_co_u32_e32 v1, vcc, v16, v1, vcc
	s_waitcnt lgkmcnt(0)
	global_store_dwordx4 v[0:1], v[4:7], off
	v_lshlrev_b64 v[0:1], 4, v[13:14]
	v_add_co_u32_e32 v10, vcc, v15, v0
	v_mov_b32_e32 v0, v9
	v_mad_u64_u32 v[12:13], s[0:1], s3, v2, v[0:1]
	v_addc_co_u32_e32 v11, vcc, v16, v1, vcc
	ds_read_b128 v[0:3], v104 offset:1056
	ds_read_b128 v[4:7], v104 offset:1232
	v_mad_u64_u32 v[13:14], s[0:1], s2, v17, 0
	v_mov_b32_e32 v9, v12
	s_waitcnt lgkmcnt(1)
	global_store_dwordx4 v[10:11], v[0:3], off
	s_nop 0
	v_mov_b32_e32 v2, v14
	v_mad_u64_u32 v[2:3], s[0:1], s3, v17, v[2:3]
	v_lshlrev_b64 v[0:1], 4, v[8:9]
	v_add_u32_e32 v17, 0x6e, v98
	v_mov_b32_e32 v14, v2
	v_add_u32_e32 v2, 0x63, v98
	v_add_co_u32_e32 v0, vcc, v15, v0
	v_mad_u64_u32 v[8:9], s[0:1], s2, v2, 0
	v_addc_co_u32_e32 v1, vcc, v16, v1, vcc
	s_waitcnt lgkmcnt(0)
	global_store_dwordx4 v[0:1], v[4:7], off
	v_lshlrev_b64 v[0:1], 4, v[13:14]
	;; [unrolled: 23-line block ×4, first 2 shown]
	v_add_co_u32_e32 v10, vcc, v15, v0
	v_mov_b32_e32 v0, v9
	v_mad_u64_u32 v[12:13], s[0:1], s3, v2, v[0:1]
	v_addc_co_u32_e32 v11, vcc, v16, v1, vcc
	ds_read_b128 v[0:3], v104 offset:2112
	ds_read_b128 v[4:7], v104 offset:2288
	v_mad_u64_u32 v[13:14], s[0:1], s2, v17, 0
	v_mov_b32_e32 v9, v12
	s_waitcnt lgkmcnt(1)
	global_store_dwordx4 v[10:11], v[0:3], off
	s_nop 0
	v_mov_b32_e32 v2, v14
	v_lshlrev_b64 v[0:1], 4, v[8:9]
	v_mad_u64_u32 v[2:3], s[0:1], s3, v17, v[2:3]
	v_add_co_u32_e32 v0, vcc, v15, v0
	v_addc_co_u32_e32 v1, vcc, v16, v1, vcc
	s_waitcnt lgkmcnt(0)
	global_store_dwordx4 v[0:1], v[4:7], off
	v_mov_b32_e32 v14, v2
	ds_read_b128 v[0:3], v104 offset:2464
	v_lshlrev_b64 v[4:5], 4, v[13:14]
	v_add_co_u32_e32 v4, vcc, v15, v4
	v_addc_co_u32_e32 v5, vcc, v16, v5, vcc
	s_waitcnt lgkmcnt(0)
	global_store_dwordx4 v[4:5], v[0:3], off
.LBB0_16:
	s_endpgm
	.section	.rodata,"a",@progbits
	.p2align	6, 0x0
	.amdhsa_kernel fft_rtc_back_len165_factors_11_5_3_wgs_55_tpt_11_dp_ip_CI_sbrr_dirReg
		.amdhsa_group_segment_fixed_size 0
		.amdhsa_private_segment_fixed_size 0
		.amdhsa_kernarg_size 88
		.amdhsa_user_sgpr_count 6
		.amdhsa_user_sgpr_private_segment_buffer 1
		.amdhsa_user_sgpr_dispatch_ptr 0
		.amdhsa_user_sgpr_queue_ptr 0
		.amdhsa_user_sgpr_kernarg_segment_ptr 1
		.amdhsa_user_sgpr_dispatch_id 0
		.amdhsa_user_sgpr_flat_scratch_init 0
		.amdhsa_user_sgpr_private_segment_size 0
		.amdhsa_uses_dynamic_stack 0
		.amdhsa_system_sgpr_private_segment_wavefront_offset 0
		.amdhsa_system_sgpr_workgroup_id_x 1
		.amdhsa_system_sgpr_workgroup_id_y 0
		.amdhsa_system_sgpr_workgroup_id_z 0
		.amdhsa_system_sgpr_workgroup_info 0
		.amdhsa_system_vgpr_workitem_id 0
		.amdhsa_next_free_vgpr 156
		.amdhsa_next_free_sgpr 40
		.amdhsa_reserve_vcc 1
		.amdhsa_reserve_flat_scratch 0
		.amdhsa_float_round_mode_32 0
		.amdhsa_float_round_mode_16_64 0
		.amdhsa_float_denorm_mode_32 3
		.amdhsa_float_denorm_mode_16_64 3
		.amdhsa_dx10_clamp 1
		.amdhsa_ieee_mode 1
		.amdhsa_fp16_overflow 0
		.amdhsa_exception_fp_ieee_invalid_op 0
		.amdhsa_exception_fp_denorm_src 0
		.amdhsa_exception_fp_ieee_div_zero 0
		.amdhsa_exception_fp_ieee_overflow 0
		.amdhsa_exception_fp_ieee_underflow 0
		.amdhsa_exception_fp_ieee_inexact 0
		.amdhsa_exception_int_div_zero 0
	.end_amdhsa_kernel
	.text
.Lfunc_end0:
	.size	fft_rtc_back_len165_factors_11_5_3_wgs_55_tpt_11_dp_ip_CI_sbrr_dirReg, .Lfunc_end0-fft_rtc_back_len165_factors_11_5_3_wgs_55_tpt_11_dp_ip_CI_sbrr_dirReg
                                        ; -- End function
	.section	.AMDGPU.csdata,"",@progbits
; Kernel info:
; codeLenInByte = 12384
; NumSgprs: 44
; NumVgprs: 156
; ScratchSize: 0
; MemoryBound: 0
; FloatMode: 240
; IeeeMode: 1
; LDSByteSize: 0 bytes/workgroup (compile time only)
; SGPRBlocks: 5
; VGPRBlocks: 38
; NumSGPRsForWavesPerEU: 44
; NumVGPRsForWavesPerEU: 156
; Occupancy: 1
; WaveLimiterHint : 1
; COMPUTE_PGM_RSRC2:SCRATCH_EN: 0
; COMPUTE_PGM_RSRC2:USER_SGPR: 6
; COMPUTE_PGM_RSRC2:TRAP_HANDLER: 0
; COMPUTE_PGM_RSRC2:TGID_X_EN: 1
; COMPUTE_PGM_RSRC2:TGID_Y_EN: 0
; COMPUTE_PGM_RSRC2:TGID_Z_EN: 0
; COMPUTE_PGM_RSRC2:TIDIG_COMP_CNT: 0
	.type	__hip_cuid_9f2cf337781840cf,@object ; @__hip_cuid_9f2cf337781840cf
	.section	.bss,"aw",@nobits
	.globl	__hip_cuid_9f2cf337781840cf
__hip_cuid_9f2cf337781840cf:
	.byte	0                               ; 0x0
	.size	__hip_cuid_9f2cf337781840cf, 1

	.ident	"AMD clang version 19.0.0git (https://github.com/RadeonOpenCompute/llvm-project roc-6.4.0 25133 c7fe45cf4b819c5991fe208aaa96edf142730f1d)"
	.section	".note.GNU-stack","",@progbits
	.addrsig
	.addrsig_sym __hip_cuid_9f2cf337781840cf
	.amdgpu_metadata
---
amdhsa.kernels:
  - .args:
      - .actual_access:  read_only
        .address_space:  global
        .offset:         0
        .size:           8
        .value_kind:     global_buffer
      - .offset:         8
        .size:           8
        .value_kind:     by_value
      - .actual_access:  read_only
        .address_space:  global
        .offset:         16
        .size:           8
        .value_kind:     global_buffer
      - .actual_access:  read_only
        .address_space:  global
        .offset:         24
        .size:           8
        .value_kind:     global_buffer
      - .offset:         32
        .size:           8
        .value_kind:     by_value
      - .actual_access:  read_only
        .address_space:  global
        .offset:         40
        .size:           8
        .value_kind:     global_buffer
      - .actual_access:  read_only
        .address_space:  global
        .offset:         48
        .size:           8
        .value_kind:     global_buffer
      - .offset:         56
        .size:           4
        .value_kind:     by_value
      - .actual_access:  read_only
        .address_space:  global
        .offset:         64
        .size:           8
        .value_kind:     global_buffer
      - .actual_access:  read_only
        .address_space:  global
        .offset:         72
        .size:           8
        .value_kind:     global_buffer
      - .address_space:  global
        .offset:         80
        .size:           8
        .value_kind:     global_buffer
    .group_segment_fixed_size: 0
    .kernarg_segment_align: 8
    .kernarg_segment_size: 88
    .language:       OpenCL C
    .language_version:
      - 2
      - 0
    .max_flat_workgroup_size: 55
    .name:           fft_rtc_back_len165_factors_11_5_3_wgs_55_tpt_11_dp_ip_CI_sbrr_dirReg
    .private_segment_fixed_size: 0
    .sgpr_count:     44
    .sgpr_spill_count: 0
    .symbol:         fft_rtc_back_len165_factors_11_5_3_wgs_55_tpt_11_dp_ip_CI_sbrr_dirReg.kd
    .uniform_work_group_size: 1
    .uses_dynamic_stack: false
    .vgpr_count:     156
    .vgpr_spill_count: 0
    .wavefront_size: 64
amdhsa.target:   amdgcn-amd-amdhsa--gfx906
amdhsa.version:
  - 1
  - 2
...

	.end_amdgpu_metadata
